;; amdgpu-corpus repo=ROCm/rocFFT kind=compiled arch=gfx950 opt=O3
	.text
	.amdgcn_target "amdgcn-amd-amdhsa--gfx950"
	.amdhsa_code_object_version 6
	.protected	fft_rtc_back_len150_factors_10_5_3_wgs_60_tpt_5_halfLds_dp_ip_CI_unitstride_sbrr_C2R_dirReg ; -- Begin function fft_rtc_back_len150_factors_10_5_3_wgs_60_tpt_5_halfLds_dp_ip_CI_unitstride_sbrr_C2R_dirReg
	.globl	fft_rtc_back_len150_factors_10_5_3_wgs_60_tpt_5_halfLds_dp_ip_CI_unitstride_sbrr_C2R_dirReg
	.p2align	8
	.type	fft_rtc_back_len150_factors_10_5_3_wgs_60_tpt_5_halfLds_dp_ip_CI_unitstride_sbrr_C2R_dirReg,@function
fft_rtc_back_len150_factors_10_5_3_wgs_60_tpt_5_halfLds_dp_ip_CI_unitstride_sbrr_C2R_dirReg: ; @fft_rtc_back_len150_factors_10_5_3_wgs_60_tpt_5_halfLds_dp_ip_CI_unitstride_sbrr_C2R_dirReg
; %bb.0:
	s_load_dwordx2 s[8:9], s[0:1], 0x50
	s_load_dwordx4 s[4:7], s[0:1], 0x0
	s_load_dwordx2 s[10:11], s[0:1], 0x18
	v_mul_u32_u24_e32 v1, 0x3334, v0
	v_lshrrev_b32_e32 v2, 16, v1
	v_mad_u64_u32 v[2:3], s[2:3], s2, 12, v[2:3]
	v_mov_b32_e32 v6, 0
	v_mov_b32_e32 v3, v6
	s_waitcnt lgkmcnt(0)
	v_cmp_lt_u64_e64 s[2:3], s[6:7], 2
	s_and_b64 vcc, exec, s[2:3]
	v_mov_b64_e32 v[4:5], 0
	v_mov_b64_e32 v[10:11], v[2:3]
	s_cbranch_vccnz .LBB0_8
; %bb.1:
	s_load_dwordx2 s[2:3], s[0:1], 0x10
	s_add_u32 s12, s10, 8
	s_addc_u32 s13, s11, 0
	s_mov_b64 s[14:15], 1
	v_mov_b64_e32 v[4:5], 0
	s_waitcnt lgkmcnt(0)
	s_add_u32 s16, s2, 8
	s_addc_u32 s17, s3, 0
	v_mov_b64_e32 v[8:9], v[2:3]
.LBB0_2:                                ; =>This Inner Loop Header: Depth=1
	s_load_dwordx2 s[18:19], s[16:17], 0x0
                                        ; implicit-def: $vgpr10_vgpr11
	s_waitcnt lgkmcnt(0)
	v_or_b32_e32 v7, s19, v9
	v_cmp_ne_u64_e32 vcc, 0, v[6:7]
	s_and_saveexec_b64 s[2:3], vcc
	s_xor_b64 s[20:21], exec, s[2:3]
	s_cbranch_execz .LBB0_4
; %bb.3:                                ;   in Loop: Header=BB0_2 Depth=1
	v_cvt_f32_u32_e32 v1, s18
	v_cvt_f32_u32_e32 v3, s19
	s_sub_u32 s2, 0, s18
	s_subb_u32 s3, 0, s19
	v_fmac_f32_e32 v1, 0x4f800000, v3
	v_rcp_f32_e32 v1, v1
	s_nop 0
	v_mul_f32_e32 v1, 0x5f7ffffc, v1
	v_mul_f32_e32 v3, 0x2f800000, v1
	v_trunc_f32_e32 v3, v3
	v_fmac_f32_e32 v1, 0xcf800000, v3
	v_cvt_u32_f32_e32 v3, v3
	v_cvt_u32_f32_e32 v1, v1
	v_mul_lo_u32 v7, s2, v3
	v_mul_hi_u32 v10, s2, v1
	v_mul_lo_u32 v11, s3, v1
	v_add_u32_e32 v7, v10, v7
	v_mul_lo_u32 v14, s2, v1
	v_add_u32_e32 v7, v7, v11
	v_mul_hi_u32 v10, v1, v14
	v_mul_hi_u32 v13, v1, v7
	v_mul_lo_u32 v12, v1, v7
	v_mov_b32_e32 v11, v6
	v_lshl_add_u64 v[10:11], v[10:11], 0, v[12:13]
	v_mul_hi_u32 v13, v3, v14
	v_mul_lo_u32 v14, v3, v14
	v_add_co_u32_e32 v10, vcc, v10, v14
	v_mul_hi_u32 v12, v3, v7
	s_nop 0
	v_addc_co_u32_e32 v10, vcc, v11, v13, vcc
	v_mov_b32_e32 v11, v6
	s_nop 0
	v_addc_co_u32_e32 v13, vcc, 0, v12, vcc
	v_mul_lo_u32 v12, v3, v7
	v_lshl_add_u64 v[10:11], v[10:11], 0, v[12:13]
	v_add_co_u32_e32 v1, vcc, v1, v10
	v_mul_hi_u32 v10, s2, v1
	s_nop 0
	v_addc_co_u32_e32 v3, vcc, v3, v11, vcc
	v_mul_lo_u32 v7, s2, v3
	v_add_u32_e32 v7, v10, v7
	v_mul_lo_u32 v10, s3, v1
	v_add_u32_e32 v7, v7, v10
	v_mul_lo_u32 v12, s2, v1
	v_mul_hi_u32 v15, v3, v12
	v_mul_lo_u32 v16, v3, v12
	v_mul_hi_u32 v11, v1, v7
	;; [unrolled: 2-line block ×3, first 2 shown]
	v_mov_b32_e32 v13, v6
	v_lshl_add_u64 v[10:11], v[12:13], 0, v[10:11]
	v_add_co_u32_e32 v10, vcc, v10, v16
	v_mul_hi_u32 v14, v3, v7
	s_nop 0
	v_addc_co_u32_e32 v10, vcc, v11, v15, vcc
	v_mul_lo_u32 v12, v3, v7
	s_nop 0
	v_addc_co_u32_e32 v13, vcc, 0, v14, vcc
	v_mov_b32_e32 v11, v6
	v_lshl_add_u64 v[10:11], v[10:11], 0, v[12:13]
	v_add_co_u32_e32 v1, vcc, v1, v10
	v_mul_hi_u32 v12, v8, v1
	s_nop 0
	v_addc_co_u32_e32 v3, vcc, v3, v11, vcc
	v_mad_u64_u32 v[10:11], s[2:3], v8, v3, 0
	v_mov_b32_e32 v13, v6
	v_lshl_add_u64 v[10:11], v[12:13], 0, v[10:11]
	v_mad_u64_u32 v[14:15], s[2:3], v9, v1, 0
	v_add_co_u32_e32 v1, vcc, v10, v14
	v_mad_u64_u32 v[12:13], s[2:3], v9, v3, 0
	s_nop 0
	v_addc_co_u32_e32 v10, vcc, v11, v15, vcc
	v_mov_b32_e32 v11, v6
	s_nop 0
	v_addc_co_u32_e32 v13, vcc, 0, v13, vcc
	v_lshl_add_u64 v[10:11], v[10:11], 0, v[12:13]
	v_mul_lo_u32 v1, s19, v10
	v_mul_lo_u32 v3, s18, v11
	v_mad_u64_u32 v[12:13], s[2:3], s18, v10, 0
	v_add3_u32 v1, v13, v3, v1
	v_sub_u32_e32 v3, v9, v1
	v_mov_b32_e32 v7, s19
	v_sub_co_u32_e32 v16, vcc, v8, v12
	v_lshl_add_u64 v[14:15], v[10:11], 0, 1
	s_nop 0
	v_subb_co_u32_e64 v3, s[2:3], v3, v7, vcc
	v_subrev_co_u32_e64 v7, s[2:3], s18, v16
	v_subb_co_u32_e32 v1, vcc, v9, v1, vcc
	s_nop 0
	v_subbrev_co_u32_e64 v3, s[2:3], 0, v3, s[2:3]
	v_cmp_le_u32_e64 s[2:3], s19, v3
	v_cmp_le_u32_e32 vcc, s19, v1
	s_nop 0
	v_cndmask_b32_e64 v12, 0, -1, s[2:3]
	v_cmp_le_u32_e64 s[2:3], s18, v7
	s_nop 1
	v_cndmask_b32_e64 v7, 0, -1, s[2:3]
	v_cmp_eq_u32_e64 s[2:3], s19, v3
	s_nop 1
	v_cndmask_b32_e64 v3, v12, v7, s[2:3]
	v_lshl_add_u64 v[12:13], v[10:11], 0, 2
	v_cmp_ne_u32_e64 s[2:3], 0, v3
	v_cndmask_b32_e64 v7, 0, -1, vcc
	v_cmp_le_u32_e32 vcc, s18, v16
	v_cndmask_b32_e64 v3, v15, v13, s[2:3]
	s_nop 0
	v_cndmask_b32_e64 v13, 0, -1, vcc
	v_cmp_eq_u32_e32 vcc, s19, v1
	s_nop 1
	v_cndmask_b32_e32 v1, v7, v13, vcc
	v_cmp_ne_u32_e32 vcc, 0, v1
	v_cndmask_b32_e64 v1, v14, v12, s[2:3]
	s_nop 0
	v_cndmask_b32_e32 v11, v11, v3, vcc
	v_cndmask_b32_e32 v10, v10, v1, vcc
.LBB0_4:                                ;   in Loop: Header=BB0_2 Depth=1
	s_andn2_saveexec_b64 s[2:3], s[20:21]
	s_cbranch_execz .LBB0_6
; %bb.5:                                ;   in Loop: Header=BB0_2 Depth=1
	v_cvt_f32_u32_e32 v1, s18
	s_sub_i32 s20, 0, s18
	v_mov_b32_e32 v11, v6
	v_rcp_iflag_f32_e32 v1, v1
	s_nop 0
	v_mul_f32_e32 v1, 0x4f7ffffe, v1
	v_cvt_u32_f32_e32 v1, v1
	v_mul_lo_u32 v3, s20, v1
	v_mul_hi_u32 v3, v1, v3
	v_add_u32_e32 v1, v1, v3
	v_mul_hi_u32 v1, v8, v1
	v_mul_lo_u32 v3, v1, s18
	v_sub_u32_e32 v3, v8, v3
	v_add_u32_e32 v7, 1, v1
	v_subrev_u32_e32 v10, s18, v3
	v_cmp_le_u32_e32 vcc, s18, v3
	s_nop 1
	v_cndmask_b32_e32 v3, v3, v10, vcc
	v_cndmask_b32_e32 v1, v1, v7, vcc
	v_add_u32_e32 v7, 1, v1
	v_cmp_le_u32_e32 vcc, s18, v3
	s_nop 1
	v_cndmask_b32_e32 v10, v1, v7, vcc
.LBB0_6:                                ;   in Loop: Header=BB0_2 Depth=1
	s_or_b64 exec, exec, s[2:3]
	v_mad_u64_u32 v[12:13], s[2:3], v10, s18, 0
	s_load_dwordx2 s[2:3], s[12:13], 0x0
	s_add_u32 s14, s14, 1
	v_mul_lo_u32 v1, v11, s18
	v_mul_lo_u32 v3, v10, s19
	s_addc_u32 s15, s15, 0
	v_add3_u32 v1, v13, v3, v1
	v_sub_co_u32_e32 v3, vcc, v8, v12
	s_add_u32 s12, s12, 8
	s_nop 0
	v_subb_co_u32_e32 v1, vcc, v9, v1, vcc
	s_addc_u32 s13, s13, 0
	v_mov_b64_e32 v[8:9], s[6:7]
	s_waitcnt lgkmcnt(0)
	v_mul_lo_u32 v1, s2, v1
	v_mul_lo_u32 v7, s3, v3
	v_mad_u64_u32 v[4:5], s[2:3], s2, v3, v[4:5]
	s_add_u32 s16, s16, 8
	v_cmp_ge_u64_e32 vcc, s[14:15], v[8:9]
	v_add3_u32 v5, v7, v5, v1
	s_addc_u32 s17, s17, 0
	s_cbranch_vccnz .LBB0_8
; %bb.7:                                ;   in Loop: Header=BB0_2 Depth=1
	v_mov_b64_e32 v[8:9], v[10:11]
	s_branch .LBB0_2
.LBB0_8:
	s_lshl_b64 s[2:3], s[6:7], 3
	s_add_u32 s2, s10, s2
	s_addc_u32 s3, s11, s3
	s_load_dwordx2 s[6:7], s[2:3], 0x0
	s_load_dwordx2 s[10:11], s[0:1], 0x20
	s_waitcnt lgkmcnt(0)
	v_mad_u64_u32 v[4:5], s[0:1], s6, v10, v[4:5]
	v_mul_lo_u32 v1, s6, v11
	v_mul_lo_u32 v3, s7, v10
	s_mov_b32 s0, 0xaaaaaaab
	v_add3_u32 v5, v3, v5, v1
	v_mul_hi_u32 v1, v2, s0
	v_lshrrev_b32_e32 v1, 3, v1
	v_mul_lo_u32 v1, v1, 12
	s_mov_b32 s0, 0x33333334
	v_sub_u32_e32 v1, v2, v1
	v_mul_hi_u32 v2, v0, s0
	v_mul_u32_u24_e32 v1, 0x97, v1
	v_mul_u32_u24_e32 v2, 5, v2
	v_cmp_gt_u64_e32 vcc, s[10:11], v[10:11]
	v_sub_u32_e32 v128, v0, v2
	v_lshl_add_u64 v[126:127], v[4:5], 4, s[8:9]
	v_lshlrev_b32_e32 v164, 4, v1
	s_and_saveexec_b64 s[2:3], vcc
	s_cbranch_execz .LBB0_12
; %bb.9:
	v_mov_b32_e32 v129, 0
	v_lshl_add_u64 v[122:123], v[128:129], 4, v[126:127]
	global_load_dwordx4 v[2:5], v[122:123], off
	global_load_dwordx4 v[6:9], v[122:123], off offset:80
	global_load_dwordx4 v[10:13], v[122:123], off offset:160
	;; [unrolled: 1-line block ×29, first 2 shown]
	v_lshlrev_b32_e32 v0, 4, v128
	v_add3_u32 v0, 0, v164, v0
	v_cmp_eq_u32_e64 s[0:1], 4, v128
	s_waitcnt vmcnt(29)
	ds_write_b128 v0, v[2:5]
	s_waitcnt vmcnt(28)
	ds_write_b128 v0, v[6:9] offset:80
	s_waitcnt vmcnt(27)
	ds_write_b128 v0, v[10:13] offset:160
	;; [unrolled: 2-line block ×29, first 2 shown]
	s_and_saveexec_b64 s[6:7], s[0:1]
	s_cbranch_execz .LBB0_11
; %bb.10:
	global_load_dwordx4 v[2:5], v[126:127], off offset:2400
	v_mov_b32_e32 v128, 4
	s_waitcnt vmcnt(0)
	ds_write_b128 v0, v[2:5] offset:2336
.LBB0_11:
	s_or_b64 exec, exec, s[6:7]
.LBB0_12:
	s_or_b64 exec, exec, s[2:3]
	v_lshl_add_u32 v162, v1, 4, 0
	v_lshlrev_b32_e32 v22, 4, v128
	v_add_u32_e32 v163, v162, v22
	s_waitcnt lgkmcnt(0)
	; wave barrier
	s_waitcnt lgkmcnt(0)
	v_sub_u32_e32 v23, v162, v22
	ds_read_b64 v[6:7], v163
	ds_read_b64 v[8:9], v23 offset:2400
	v_cmp_ne_u32_e64 s[0:1], 0, v128
                                        ; implicit-def: $vgpr4_vgpr5
	s_waitcnt lgkmcnt(0)
	v_add_f64 v[0:1], v[6:7], v[8:9]
	v_add_f64 v[2:3], v[6:7], -v[8:9]
	s_and_saveexec_b64 s[2:3], s[0:1]
	s_xor_b64 s[0:1], exec, s[2:3]
	s_cbranch_execz .LBB0_14
; %bb.13:
	v_mov_b32_e32 v129, 0
	v_lshl_add_u64 v[0:1], v[128:129], 4, s[4:5]
	global_load_dwordx4 v[10:13], v[0:1], off offset:2240
	ds_read_b64 v[0:1], v23 offset:2408
	ds_read_b64 v[2:3], v163 offset:8
	v_add_f64 v[4:5], v[6:7], v[8:9]
	v_add_f64 v[8:9], v[6:7], -v[8:9]
	s_waitcnt lgkmcnt(0)
	v_add_f64 v[14:15], v[0:1], v[2:3]
	v_add_f64 v[0:1], v[2:3], -v[0:1]
	s_waitcnt vmcnt(0)
	v_fma_f64 v[16:17], v[8:9], v[12:13], v[4:5]
	v_fma_f64 v[4:5], -v[8:9], v[12:13], v[4:5]
	v_fma_f64 v[6:7], v[14:15], v[12:13], -v[0:1]
	v_fma_f64 v[2:3], v[14:15], v[12:13], v[0:1]
	v_fmac_f64_e32 v[4:5], v[14:15], v[10:11]
	v_fmac_f64_e32 v[6:7], v[8:9], v[10:11]
	v_fma_f64 v[0:1], -v[14:15], v[10:11], v[16:17]
	v_fmac_f64_e32 v[2:3], v[8:9], v[10:11]
	ds_write_b128 v23, v[4:7] offset:2400
	v_mov_b64_e32 v[4:5], v[128:129]
.LBB0_14:
	s_andn2_saveexec_b64 s[0:1], s[0:1]
	s_cbranch_execz .LBB0_16
; %bb.15:
	ds_read_b128 v[4:7], v162 offset:1200
	s_waitcnt lgkmcnt(0)
	v_add_f64 v[4:5], v[4:5], v[4:5]
	v_mul_f64 v[6:7], v[6:7], -2.0
	ds_write_b128 v162, v[4:7] offset:1200
	v_mov_b64_e32 v[4:5], 0
.LBB0_16:
	s_or_b64 exec, exec, s[0:1]
	s_add_u32 s0, s4, 0x8c0
	s_addc_u32 s1, s5, 0
	v_lshl_add_u64 v[20:21], v[4:5], 4, s[0:1]
	global_load_dwordx4 v[8:11], v[20:21], off offset:80
	global_load_dwordx4 v[12:15], v[20:21], off offset:160
	;; [unrolled: 1-line block ×4, first 2 shown]
	ds_write_b128 v163, v[0:3]
	ds_read_b128 v[24:27], v163 offset:80
	ds_read_b128 v[28:31], v23 offset:2320
	global_load_dwordx4 v[0:3], v[20:21], off offset:400
	v_add3_u32 v129, 0, v22, v164
	s_mov_b32 s0, 0x134454ff
	s_mov_b32 s1, 0xbfee6f0e
	s_waitcnt lgkmcnt(0)
	v_add_f64 v[32:33], v[24:25], v[28:29]
	v_add_f64 v[34:35], v[30:31], v[26:27]
	v_add_f64 v[36:37], v[24:25], -v[28:29]
	v_add_f64 v[24:25], v[26:27], -v[30:31]
	s_mov_b32 s2, 0x4755a5e
	s_mov_b32 s9, 0x3fee6f0e
	;; [unrolled: 1-line block ×14, first 2 shown]
	v_add_u32_e32 v167, 5, v128
	v_add_u32_e32 v166, 20, v128
	;; [unrolled: 1-line block ×3, first 2 shown]
	s_waitcnt vmcnt(4)
	v_fma_f64 v[38:39], v[36:37], v[10:11], v[32:33]
	v_fma_f64 v[26:27], v[34:35], v[10:11], v[24:25]
	v_fma_f64 v[28:29], -v[36:37], v[10:11], v[32:33]
	v_fma_f64 v[30:31], v[34:35], v[10:11], -v[24:25]
	v_fma_f64 v[24:25], -v[34:35], v[8:9], v[38:39]
	v_fmac_f64_e32 v[26:27], v[36:37], v[8:9]
	v_fmac_f64_e32 v[28:29], v[34:35], v[8:9]
	v_fmac_f64_e32 v[30:31], v[36:37], v[8:9]
	ds_write_b128 v163, v[24:27] offset:80
	ds_write_b128 v23, v[28:31] offset:2320
	ds_read_b128 v[24:27], v163 offset:160
	ds_read_b128 v[28:31], v23 offset:2240
	global_load_dwordx4 v[8:11], v[20:21], off offset:480
	s_waitcnt lgkmcnt(0)
	v_add_f64 v[32:33], v[24:25], v[28:29]
	v_add_f64 v[34:35], v[30:31], v[26:27]
	v_add_f64 v[36:37], v[24:25], -v[28:29]
	v_add_f64 v[24:25], v[26:27], -v[30:31]
	s_waitcnt vmcnt(4)
	v_fma_f64 v[38:39], v[36:37], v[14:15], v[32:33]
	v_fma_f64 v[26:27], v[34:35], v[14:15], v[24:25]
	v_fma_f64 v[28:29], -v[36:37], v[14:15], v[32:33]
	v_fma_f64 v[30:31], v[34:35], v[14:15], -v[24:25]
	v_fma_f64 v[24:25], -v[34:35], v[12:13], v[38:39]
	v_fmac_f64_e32 v[26:27], v[36:37], v[12:13]
	v_fmac_f64_e32 v[28:29], v[34:35], v[12:13]
	v_fmac_f64_e32 v[30:31], v[36:37], v[12:13]
	ds_write_b128 v163, v[24:27] offset:160
	ds_write_b128 v23, v[28:31] offset:2240
	ds_read_b128 v[24:27], v163 offset:240
	ds_read_b128 v[28:31], v23 offset:2160
	global_load_dwordx4 v[12:15], v[20:21], off offset:560
	s_waitcnt lgkmcnt(0)
	v_add_f64 v[32:33], v[24:25], v[28:29]
	v_add_f64 v[34:35], v[30:31], v[26:27]
	v_add_f64 v[36:37], v[24:25], -v[28:29]
	v_add_f64 v[24:25], v[26:27], -v[30:31]
	;; [unrolled: 19-line block ×8, first 2 shown]
	s_waitcnt vmcnt(4)
	v_fma_f64 v[16:17], v[36:37], v[6:7], v[32:33]
	v_fma_f64 v[18:19], v[34:35], v[6:7], v[26:27]
	v_fma_f64 v[24:25], -v[36:37], v[6:7], v[32:33]
	v_fma_f64 v[26:27], v[34:35], v[6:7], -v[26:27]
	v_fma_f64 v[16:17], -v[34:35], v[4:5], v[16:17]
	v_fmac_f64_e32 v[18:19], v[36:37], v[4:5]
	v_fmac_f64_e32 v[24:25], v[34:35], v[4:5]
	;; [unrolled: 1-line block ×3, first 2 shown]
	ds_write_b128 v163, v[16:19] offset:720
	ds_write_b128 v23, v[24:27] offset:1680
	ds_read_b128 v[4:7], v163 offset:800
	ds_read_b128 v[16:19], v23 offset:1600
	s_waitcnt lgkmcnt(0)
	v_add_f64 v[24:25], v[4:5], v[16:17]
	v_add_f64 v[26:27], v[18:19], v[6:7]
	v_add_f64 v[32:33], v[4:5], -v[16:17]
	v_add_f64 v[34:35], v[6:7], -v[18:19]
	global_load_dwordx4 v[4:7], v[20:21], off offset:1120
	s_waitcnt vmcnt(4)
	v_fma_f64 v[16:17], v[32:33], v[2:3], v[24:25]
	v_fma_f64 v[18:19], v[26:27], v[2:3], v[34:35]
	v_fma_f64 v[16:17], -v[26:27], v[0:1], v[16:17]
	v_fmac_f64_e32 v[18:19], v[32:33], v[0:1]
	ds_write_b128 v163, v[16:19] offset:800
	v_fma_f64 v[16:17], -v[32:33], v[2:3], v[24:25]
	v_fma_f64 v[18:19], v[26:27], v[2:3], -v[34:35]
	v_fmac_f64_e32 v[16:17], v[26:27], v[0:1]
	v_fmac_f64_e32 v[18:19], v[32:33], v[0:1]
	ds_write_b128 v23, v[16:19] offset:1600
	ds_read_b128 v[0:3], v163 offset:880
	ds_read_b128 v[16:19], v23 offset:1520
	s_waitcnt lgkmcnt(0)
	v_add_f64 v[20:21], v[0:1], v[16:17]
	v_add_f64 v[24:25], v[18:19], v[2:3]
	v_add_f64 v[16:17], v[0:1], -v[16:17]
	v_add_f64 v[18:19], v[2:3], -v[18:19]
	s_waitcnt vmcnt(3)
	v_fma_f64 v[0:1], v[16:17], v[10:11], v[20:21]
	v_fma_f64 v[2:3], v[24:25], v[10:11], v[18:19]
	v_fma_f64 v[0:1], -v[24:25], v[8:9], v[0:1]
	v_fmac_f64_e32 v[2:3], v[16:17], v[8:9]
	ds_write_b128 v163, v[0:3] offset:880
	v_fma_f64 v[0:1], -v[16:17], v[10:11], v[20:21]
	v_fma_f64 v[2:3], v[24:25], v[10:11], -v[18:19]
	v_fmac_f64_e32 v[0:1], v[24:25], v[8:9]
	v_fmac_f64_e32 v[2:3], v[16:17], v[8:9]
	ds_write_b128 v23, v[0:3] offset:1520
	ds_read_b128 v[0:3], v163 offset:960
	ds_read_b128 v[8:11], v23 offset:1440
	s_waitcnt lgkmcnt(0)
	v_add_f64 v[16:17], v[0:1], v[8:9]
	v_add_f64 v[18:19], v[10:11], v[2:3]
	v_add_f64 v[8:9], v[0:1], -v[8:9]
	v_add_f64 v[10:11], v[2:3], -v[10:11]
	;; [unrolled: 18-line block ×4, first 2 shown]
	s_waitcnt vmcnt(0)
	v_fma_f64 v[0:1], v[8:9], v[6:7], v[12:13]
	v_fma_f64 v[2:3], v[14:15], v[6:7], v[10:11]
	v_fma_f64 v[0:1], -v[14:15], v[4:5], v[0:1]
	v_fmac_f64_e32 v[2:3], v[8:9], v[4:5]
	ds_write_b128 v163, v[0:3] offset:1120
	v_fma_f64 v[0:1], -v[8:9], v[6:7], v[12:13]
	v_fma_f64 v[2:3], v[14:15], v[6:7], -v[10:11]
	v_fmac_f64_e32 v[0:1], v[14:15], v[4:5]
	v_fmac_f64_e32 v[2:3], v[8:9], v[4:5]
	ds_write_b128 v23, v[0:3] offset:1280
	s_waitcnt lgkmcnt(0)
	; wave barrier
	s_waitcnt lgkmcnt(0)
	s_waitcnt lgkmcnt(0)
	; wave barrier
	s_waitcnt lgkmcnt(0)
	ds_read_b128 v[40:43], v163
	ds_read_b128 v[80:83], v129 offset:80
	ds_read_b128 v[30:33], v129 offset:480
	;; [unrolled: 1-line block ×29, first 2 shown]
	s_waitcnt lgkmcnt(14)
	v_add_f64 v[24:25], v[40:41], v[30:31]
	v_add_f64 v[24:25], v[24:25], v[34:35]
	;; [unrolled: 1-line block ×5, first 2 shown]
	v_fma_f64 v[38:39], -0.5, v[24:25], v[40:41]
	v_add_f64 v[24:25], v[32:33], -v[124:125]
	v_fma_f64 v[130:131], s[0:1], v[24:25], v[38:39]
	v_add_f64 v[132:133], v[36:37], -v[46:47]
	v_add_f64 v[134:135], v[30:31], -v[34:35]
	;; [unrolled: 1-line block ×3, first 2 shown]
	v_fmac_f64_e32 v[38:39], s[8:9], v[24:25]
	v_fmac_f64_e32 v[130:131], s[2:3], v[132:133]
	v_add_f64 v[134:135], v[134:135], v[136:137]
	v_fmac_f64_e32 v[38:39], s[10:11], v[132:133]
	v_fmac_f64_e32 v[130:131], s[6:7], v[134:135]
	;; [unrolled: 1-line block ×3, first 2 shown]
	v_add_f64 v[134:135], v[30:31], v[122:123]
	v_fmac_f64_e32 v[40:41], -0.5, v[134:135]
	v_fma_f64 v[136:137], s[8:9], v[132:133], v[40:41]
	v_fmac_f64_e32 v[40:41], s[0:1], v[132:133]
	v_fmac_f64_e32 v[136:137], s[2:3], v[24:25]
	v_fmac_f64_e32 v[40:41], s[10:11], v[24:25]
	v_add_f64 v[24:25], v[42:43], v[32:33]
	v_add_f64 v[134:135], v[34:35], -v[30:31]
	v_add_f64 v[138:139], v[44:45], -v[122:123]
	v_add_f64 v[24:25], v[24:25], v[36:37]
	v_add_f64 v[134:135], v[134:135], v[138:139]
	;; [unrolled: 1-line block ×3, first 2 shown]
	v_fmac_f64_e32 v[136:137], s[6:7], v[134:135]
	v_fmac_f64_e32 v[40:41], s[6:7], v[134:135]
	v_add_f64 v[134:135], v[24:25], v[124:125]
	v_add_f64 v[24:25], v[36:37], v[46:47]
	v_fma_f64 v[132:133], -0.5, v[24:25], v[42:43]
	v_add_f64 v[24:25], v[30:31], -v[122:123]
	v_fma_f64 v[30:31], s[8:9], v[24:25], v[132:133]
	v_add_f64 v[34:35], v[34:35], -v[44:45]
	v_add_f64 v[44:45], v[32:33], -v[36:37]
	;; [unrolled: 1-line block ×3, first 2 shown]
	v_fmac_f64_e32 v[132:133], s[0:1], v[24:25]
	v_fmac_f64_e32 v[30:31], s[10:11], v[34:35]
	v_add_f64 v[44:45], v[44:45], v[122:123]
	v_fmac_f64_e32 v[132:133], s[2:3], v[34:35]
	v_fmac_f64_e32 v[30:31], s[6:7], v[44:45]
	v_fmac_f64_e32 v[132:133], s[6:7], v[44:45]
	v_add_f64 v[44:45], v[32:33], v[124:125]
	v_fmac_f64_e32 v[42:43], -0.5, v[44:45]
	v_fma_f64 v[122:123], s[0:1], v[34:35], v[42:43]
	v_fmac_f64_e32 v[42:43], s[8:9], v[34:35]
	v_fmac_f64_e32 v[122:123], s[10:11], v[24:25]
	;; [unrolled: 1-line block ×3, first 2 shown]
	v_add_f64 v[24:25], v[26:27], v[4:5]
	v_add_f64 v[32:33], v[36:37], -v[32:33]
	v_add_f64 v[36:37], v[46:47], -v[124:125]
	s_waitcnt lgkmcnt(11)
	v_add_f64 v[24:25], v[24:25], v[8:9]
	v_add_f64 v[32:33], v[32:33], v[36:37]
	s_waitcnt lgkmcnt(7)
	v_add_f64 v[24:25], v[24:25], v[12:13]
	v_fmac_f64_e32 v[122:123], s[6:7], v[32:33]
	v_fmac_f64_e32 v[42:43], s[6:7], v[32:33]
	s_waitcnt lgkmcnt(3)
	v_add_f64 v[32:33], v[24:25], v[20:21]
	v_add_f64 v[24:25], v[8:9], v[12:13]
	v_fma_f64 v[34:35], -0.5, v[24:25], v[26:27]
	v_add_f64 v[24:25], v[6:7], -v[22:23]
	v_fma_f64 v[36:37], s[0:1], v[24:25], v[34:35]
	v_add_f64 v[44:45], v[10:11], -v[14:15]
	v_add_f64 v[46:47], v[4:5], -v[8:9]
	;; [unrolled: 1-line block ×3, first 2 shown]
	v_fmac_f64_e32 v[34:35], s[8:9], v[24:25]
	v_fmac_f64_e32 v[36:37], s[2:3], v[44:45]
	v_add_f64 v[46:47], v[46:47], v[124:125]
	v_fmac_f64_e32 v[34:35], s[10:11], v[44:45]
	v_fmac_f64_e32 v[36:37], s[6:7], v[46:47]
	;; [unrolled: 1-line block ×3, first 2 shown]
	v_add_f64 v[46:47], v[4:5], v[20:21]
	v_fmac_f64_e32 v[26:27], -0.5, v[46:47]
	v_fma_f64 v[46:47], s[8:9], v[44:45], v[26:27]
	v_fmac_f64_e32 v[26:27], s[0:1], v[44:45]
	v_fmac_f64_e32 v[46:47], s[2:3], v[24:25]
	v_fmac_f64_e32 v[26:27], s[10:11], v[24:25]
	v_add_f64 v[24:25], v[28:29], v[6:7]
	v_add_f64 v[124:125], v[8:9], -v[4:5]
	v_add_f64 v[138:139], v[12:13], -v[20:21]
	v_add_f64 v[24:25], v[24:25], v[10:11]
	v_add_f64 v[124:125], v[124:125], v[138:139]
	;; [unrolled: 1-line block ×3, first 2 shown]
	v_fmac_f64_e32 v[46:47], s[6:7], v[124:125]
	v_fmac_f64_e32 v[26:27], s[6:7], v[124:125]
	v_add_f64 v[124:125], v[24:25], v[22:23]
	v_add_f64 v[24:25], v[10:11], v[14:15]
	v_fma_f64 v[44:45], -0.5, v[24:25], v[28:29]
	v_add_f64 v[4:5], v[4:5], -v[20:21]
	v_fma_f64 v[138:139], s[8:9], v[4:5], v[44:45]
	v_add_f64 v[8:9], v[8:9], -v[12:13]
	v_add_f64 v[12:13], v[6:7], -v[10:11]
	;; [unrolled: 1-line block ×3, first 2 shown]
	v_fmac_f64_e32 v[44:45], s[0:1], v[4:5]
	v_fmac_f64_e32 v[138:139], s[10:11], v[8:9]
	v_add_f64 v[12:13], v[12:13], v[20:21]
	v_fmac_f64_e32 v[44:45], s[2:3], v[8:9]
	v_fmac_f64_e32 v[138:139], s[6:7], v[12:13]
	;; [unrolled: 1-line block ×3, first 2 shown]
	v_add_f64 v[12:13], v[6:7], v[22:23]
	v_fmac_f64_e32 v[28:29], -0.5, v[12:13]
	v_fma_f64 v[140:141], s[0:1], v[8:9], v[28:29]
	v_add_f64 v[6:7], v[10:11], -v[6:7]
	v_add_f64 v[10:11], v[14:15], -v[22:23]
	v_mul_f64 v[142:143], v[138:139], s[2:3]
	v_fmac_f64_e32 v[140:141], s[10:11], v[4:5]
	v_add_f64 v[6:7], v[6:7], v[10:11]
	v_fmac_f64_e32 v[28:29], s[8:9], v[8:9]
	v_add_f64 v[12:13], v[100:101], v[32:33]
	v_fmac_f64_e32 v[142:143], s[16:17], v[36:37]
	v_mul_f64 v[150:151], v[36:37], s[10:11]
	v_add_f64 v[36:37], v[100:101], -v[32:33]
	v_add_f64 v[100:101], v[80:81], v[106:107]
	v_fmac_f64_e32 v[140:141], s[6:7], v[6:7]
	v_fmac_f64_e32 v[28:29], s[2:3], v[4:5]
	v_add_f64 v[100:101], v[100:101], v[110:111]
	v_fmac_f64_e32 v[28:29], s[6:7], v[6:7]
	v_mul_f64 v[144:145], v[140:141], s[0:1]
	v_fmac_f64_e32 v[150:151], s[16:17], v[138:139]
	v_mul_f64 v[138:139], v[140:141], s[6:7]
	v_add_f64 v[100:101], v[100:101], v[114:115]
	v_add_f64 v[8:9], v[130:131], v[142:143]
	v_fmac_f64_e32 v[144:145], s[6:7], v[46:47]
	v_mul_f64 v[146:147], v[28:29], s[0:1]
	v_mul_f64 v[148:149], v[44:45], s[2:3]
	v_fmac_f64_e32 v[138:139], s[8:9], v[46:47]
	v_mul_f64 v[46:47], v[28:29], s[14:15]
	v_mul_f64 v[140:141], v[44:45], s[12:13]
	v_add_f64 v[32:33], v[130:131], -v[142:143]
	v_add_f64 v[130:131], v[100:101], v[118:119]
	v_add_f64 v[100:101], v[110:111], v[114:115]
	v_fmac_f64_e32 v[146:147], s[14:15], v[26:27]
	v_fmac_f64_e32 v[148:149], s[12:13], v[34:35]
	v_add_f64 v[10:11], v[30:31], v[150:151]
	v_add_f64 v[6:7], v[122:123], v[138:139]
	v_fmac_f64_e32 v[46:47], s[8:9], v[26:27]
	v_fmac_f64_e32 v[140:141], s[10:11], v[34:35]
	v_add_f64 v[34:35], v[30:31], -v[150:151]
	v_add_f64 v[30:31], v[122:123], -v[138:139]
	v_fma_f64 v[122:123], -0.5, v[100:101], v[80:81]
	v_add_f64 v[100:101], v[108:109], -v[120:121]
	v_add_f64 v[4:5], v[136:137], v[144:145]
	v_add_f64 v[24:25], v[40:41], v[146:147]
	;; [unrolled: 1-line block ×6, first 2 shown]
	v_add_f64 v[28:29], v[136:137], -v[144:145]
	v_add_f64 v[44:45], v[40:41], -v[146:147]
	;; [unrolled: 1-line block ×6, first 2 shown]
	v_fma_f64 v[134:135], s[0:1], v[100:101], v[122:123]
	v_add_f64 v[124:125], v[112:113], -v[116:117]
	v_add_f64 v[132:133], v[106:107], -v[110:111]
	;; [unrolled: 1-line block ×3, first 2 shown]
	v_fmac_f64_e32 v[122:123], s[8:9], v[100:101]
	v_fmac_f64_e32 v[134:135], s[2:3], v[124:125]
	v_add_f64 v[132:133], v[132:133], v[136:137]
	v_fmac_f64_e32 v[122:123], s[10:11], v[124:125]
	v_fmac_f64_e32 v[134:135], s[6:7], v[132:133]
	;; [unrolled: 1-line block ×3, first 2 shown]
	v_add_f64 v[132:133], v[106:107], v[118:119]
	v_fmac_f64_e32 v[80:81], -0.5, v[132:133]
	v_fma_f64 v[136:137], s[8:9], v[124:125], v[80:81]
	v_fmac_f64_e32 v[80:81], s[0:1], v[124:125]
	v_fmac_f64_e32 v[136:137], s[2:3], v[100:101]
	;; [unrolled: 1-line block ×3, first 2 shown]
	v_add_f64 v[100:101], v[82:83], v[108:109]
	v_add_f64 v[132:133], v[110:111], -v[106:107]
	v_add_f64 v[138:139], v[114:115], -v[118:119]
	v_add_f64 v[100:101], v[100:101], v[112:113]
	v_add_f64 v[132:133], v[132:133], v[138:139]
	;; [unrolled: 1-line block ×3, first 2 shown]
	v_fmac_f64_e32 v[136:137], s[6:7], v[132:133]
	v_fmac_f64_e32 v[80:81], s[6:7], v[132:133]
	v_add_f64 v[132:133], v[100:101], v[120:121]
	v_add_f64 v[100:101], v[112:113], v[116:117]
	v_fma_f64 v[124:125], -0.5, v[100:101], v[82:83]
	v_add_f64 v[100:101], v[106:107], -v[118:119]
	v_fma_f64 v[106:107], s[8:9], v[100:101], v[124:125]
	v_add_f64 v[110:111], v[110:111], -v[114:115]
	v_add_f64 v[114:115], v[108:109], -v[112:113]
	;; [unrolled: 1-line block ×3, first 2 shown]
	v_fmac_f64_e32 v[124:125], s[0:1], v[100:101]
	v_fmac_f64_e32 v[106:107], s[10:11], v[110:111]
	v_add_f64 v[114:115], v[114:115], v[118:119]
	v_fmac_f64_e32 v[124:125], s[2:3], v[110:111]
	v_fmac_f64_e32 v[106:107], s[6:7], v[114:115]
	;; [unrolled: 1-line block ×3, first 2 shown]
	v_add_f64 v[114:115], v[108:109], v[120:121]
	v_fmac_f64_e32 v[82:83], -0.5, v[114:115]
	v_fma_f64 v[118:119], s[0:1], v[110:111], v[82:83]
	v_fmac_f64_e32 v[82:83], s[8:9], v[110:111]
	v_fmac_f64_e32 v[118:119], s[10:11], v[100:101]
	;; [unrolled: 1-line block ×3, first 2 shown]
	v_add_f64 v[100:101], v[102:103], v[84:85]
	v_add_f64 v[108:109], v[112:113], -v[108:109]
	v_add_f64 v[112:113], v[116:117], -v[120:121]
	v_add_f64 v[100:101], v[100:101], v[88:89]
	v_add_f64 v[108:109], v[108:109], v[112:113]
	;; [unrolled: 1-line block ×3, first 2 shown]
	v_fmac_f64_e32 v[118:119], s[6:7], v[108:109]
	v_fmac_f64_e32 v[82:83], s[6:7], v[108:109]
	s_waitcnt lgkmcnt(1)
	v_add_f64 v[108:109], v[100:101], v[96:97]
	v_add_f64 v[100:101], v[88:89], v[92:93]
	v_fma_f64 v[110:111], -0.5, v[100:101], v[102:103]
	v_add_f64 v[100:101], v[86:87], -v[98:99]
	v_fma_f64 v[112:113], s[0:1], v[100:101], v[110:111]
	v_add_f64 v[114:115], v[90:91], -v[94:95]
	v_add_f64 v[116:117], v[84:85], -v[88:89]
	;; [unrolled: 1-line block ×3, first 2 shown]
	v_fmac_f64_e32 v[110:111], s[8:9], v[100:101]
	v_fmac_f64_e32 v[112:113], s[2:3], v[114:115]
	v_add_f64 v[116:117], v[116:117], v[120:121]
	v_fmac_f64_e32 v[110:111], s[10:11], v[114:115]
	v_fmac_f64_e32 v[112:113], s[6:7], v[116:117]
	v_fmac_f64_e32 v[110:111], s[6:7], v[116:117]
	v_add_f64 v[116:117], v[84:85], v[96:97]
	v_fmac_f64_e32 v[102:103], -0.5, v[116:117]
	v_fma_f64 v[116:117], s[8:9], v[114:115], v[102:103]
	v_fmac_f64_e32 v[102:103], s[0:1], v[114:115]
	v_fmac_f64_e32 v[116:117], s[2:3], v[100:101]
	;; [unrolled: 1-line block ×3, first 2 shown]
	v_add_f64 v[100:101], v[104:105], v[86:87]
	v_add_f64 v[100:101], v[100:101], v[90:91]
	v_add_f64 v[120:121], v[88:89], -v[84:85]
	v_add_f64 v[138:139], v[92:93], -v[96:97]
	v_add_f64 v[100:101], v[100:101], v[94:95]
	v_add_f64 v[120:121], v[120:121], v[138:139]
	;; [unrolled: 1-line block ×4, first 2 shown]
	v_fmac_f64_e32 v[116:117], s[6:7], v[120:121]
	v_fmac_f64_e32 v[102:103], s[6:7], v[120:121]
	v_fma_f64 v[120:121], -0.5, v[100:101], v[104:105]
	v_add_f64 v[84:85], v[84:85], -v[96:97]
	v_fma_f64 v[138:139], s[8:9], v[84:85], v[120:121]
	v_add_f64 v[88:89], v[88:89], -v[92:93]
	v_add_f64 v[92:93], v[86:87], -v[90:91]
	;; [unrolled: 1-line block ×3, first 2 shown]
	v_fmac_f64_e32 v[120:121], s[0:1], v[84:85]
	v_fmac_f64_e32 v[138:139], s[10:11], v[88:89]
	v_add_f64 v[92:93], v[92:93], v[96:97]
	v_fmac_f64_e32 v[120:121], s[2:3], v[88:89]
	v_fmac_f64_e32 v[138:139], s[6:7], v[92:93]
	;; [unrolled: 1-line block ×3, first 2 shown]
	v_add_f64 v[92:93], v[86:87], v[98:99]
	v_fmac_f64_e32 v[104:105], -0.5, v[92:93]
	v_fma_f64 v[140:141], s[0:1], v[88:89], v[104:105]
	v_add_f64 v[86:87], v[90:91], -v[86:87]
	v_add_f64 v[90:91], v[94:95], -v[98:99]
	v_fmac_f64_e32 v[104:105], s[8:9], v[88:89]
	v_fmac_f64_e32 v[140:141], s[10:11], v[84:85]
	v_add_f64 v[86:87], v[86:87], v[90:91]
	v_fmac_f64_e32 v[104:105], s[2:3], v[84:85]
	v_fmac_f64_e32 v[140:141], s[6:7], v[86:87]
	;; [unrolled: 1-line block ×3, first 2 shown]
	v_mul_f64 v[150:151], v[112:113], s[10:11]
	v_mul_f64 v[142:143], v[138:139], s[2:3]
	v_mul_f64 v[144:145], v[140:141], s[0:1]
	v_mul_f64 v[148:149], v[120:121], s[2:3]
	v_fmac_f64_e32 v[150:151], s[16:17], v[138:139]
	v_mul_f64 v[138:139], v[140:141], s[6:7]
	v_mul_f64 v[140:141], v[104:105], s[14:15]
	;; [unrolled: 1-line block ×4, first 2 shown]
	v_fmac_f64_e32 v[138:139], s[8:9], v[116:117]
	v_fmac_f64_e32 v[140:141], s[8:9], v[102:103]
	;; [unrolled: 1-line block ×5, first 2 shown]
	v_add_f64 v[90:91], v[106:107], v[150:151]
	v_add_f64 v[86:87], v[118:119], v[138:139]
	;; [unrolled: 1-line block ×4, first 2 shown]
	v_add_f64 v[110:111], v[106:107], -v[150:151]
	v_add_f64 v[106:107], v[118:119], -v[138:139]
	;; [unrolled: 1-line block ×4, first 2 shown]
	v_add_f64 v[120:121], v[0:1], v[64:65]
	v_add_f64 v[120:121], v[120:121], v[68:69]
	;; [unrolled: 1-line block ×4, first 2 shown]
	v_fmac_f64_e32 v[142:143], s[16:17], v[112:113]
	v_add_f64 v[112:113], v[130:131], -v[108:109]
	v_add_f64 v[130:131], v[120:121], v[76:77]
	v_add_f64 v[120:121], v[68:69], v[72:73]
	v_fmac_f64_e32 v[144:145], s[6:7], v[116:117]
	v_fma_f64 v[124:125], -0.5, v[120:121], v[0:1]
	v_add_f64 v[120:121], v[66:67], -v[78:79]
	v_add_f64 v[88:89], v[134:135], v[142:143]
	v_add_f64 v[84:85], v[136:137], v[144:145]
	;; [unrolled: 1-line block ×5, first 2 shown]
	v_add_f64 v[108:109], v[134:135], -v[142:143]
	v_add_f64 v[104:105], v[136:137], -v[144:145]
	;; [unrolled: 1-line block ×5, first 2 shown]
	v_fma_f64 v[134:135], s[0:1], v[120:121], v[124:125]
	v_add_f64 v[122:123], v[70:71], -v[74:75]
	v_add_f64 v[132:133], v[64:65], -v[68:69]
	;; [unrolled: 1-line block ×3, first 2 shown]
	v_fmac_f64_e32 v[124:125], s[8:9], v[120:121]
	v_fmac_f64_e32 v[134:135], s[2:3], v[122:123]
	v_add_f64 v[132:133], v[132:133], v[136:137]
	v_fmac_f64_e32 v[124:125], s[10:11], v[122:123]
	v_fmac_f64_e32 v[134:135], s[6:7], v[132:133]
	;; [unrolled: 1-line block ×3, first 2 shown]
	v_add_f64 v[132:133], v[64:65], v[76:77]
	v_fmac_f64_e32 v[0:1], -0.5, v[132:133]
	v_fma_f64 v[138:139], s[8:9], v[122:123], v[0:1]
	v_fmac_f64_e32 v[0:1], s[0:1], v[122:123]
	v_fmac_f64_e32 v[138:139], s[2:3], v[120:121]
	v_fmac_f64_e32 v[0:1], s[10:11], v[120:121]
	v_add_f64 v[120:121], v[2:3], v[66:67]
	v_add_f64 v[132:133], v[68:69], -v[64:65]
	v_add_f64 v[136:137], v[72:73], -v[76:77]
	v_add_f64 v[120:121], v[120:121], v[70:71]
	v_add_f64 v[132:133], v[132:133], v[136:137]
	;; [unrolled: 1-line block ×3, first 2 shown]
	v_fmac_f64_e32 v[138:139], s[6:7], v[132:133]
	v_fmac_f64_e32 v[0:1], s[6:7], v[132:133]
	v_add_f64 v[132:133], v[120:121], v[78:79]
	v_add_f64 v[120:121], v[70:71], v[74:75]
	v_fma_f64 v[120:121], -0.5, v[120:121], v[2:3]
	v_add_f64 v[64:65], v[64:65], -v[76:77]
	v_fma_f64 v[136:137], s[8:9], v[64:65], v[120:121]
	v_add_f64 v[68:69], v[68:69], -v[72:73]
	v_add_f64 v[72:73], v[66:67], -v[70:71]
	;; [unrolled: 1-line block ×3, first 2 shown]
	v_fmac_f64_e32 v[120:121], s[0:1], v[64:65]
	v_fmac_f64_e32 v[136:137], s[10:11], v[68:69]
	v_add_f64 v[72:73], v[72:73], v[76:77]
	v_fmac_f64_e32 v[120:121], s[2:3], v[68:69]
	v_fmac_f64_e32 v[136:137], s[6:7], v[72:73]
	;; [unrolled: 1-line block ×3, first 2 shown]
	v_add_f64 v[72:73], v[66:67], v[78:79]
	v_fmac_f64_e32 v[2:3], -0.5, v[72:73]
	v_fma_f64 v[140:141], s[0:1], v[68:69], v[2:3]
	v_fmac_f64_e32 v[2:3], s[8:9], v[68:69]
	v_fmac_f64_e32 v[140:141], s[10:11], v[64:65]
	;; [unrolled: 1-line block ×3, first 2 shown]
	v_add_f64 v[64:65], v[16:17], v[48:49]
	v_add_f64 v[64:65], v[64:65], v[52:53]
	;; [unrolled: 1-line block ×3, first 2 shown]
	v_add_f64 v[66:67], v[70:71], -v[66:67]
	v_add_f64 v[70:71], v[74:75], -v[78:79]
	s_waitcnt lgkmcnt(0)
	v_add_f64 v[68:69], v[64:65], v[60:61]
	v_add_f64 v[64:65], v[52:53], v[56:57]
	;; [unrolled: 1-line block ×3, first 2 shown]
	v_fma_f64 v[70:71], -0.5, v[64:65], v[16:17]
	v_add_f64 v[64:65], v[50:51], -v[62:63]
	v_fmac_f64_e32 v[140:141], s[6:7], v[66:67]
	v_fmac_f64_e32 v[2:3], s[6:7], v[66:67]
	v_fma_f64 v[66:67], s[0:1], v[64:65], v[70:71]
	v_add_f64 v[72:73], v[54:55], -v[58:59]
	v_add_f64 v[74:75], v[48:49], -v[52:53]
	;; [unrolled: 1-line block ×3, first 2 shown]
	v_fmac_f64_e32 v[70:71], s[8:9], v[64:65]
	v_fmac_f64_e32 v[66:67], s[2:3], v[72:73]
	v_add_f64 v[74:75], v[74:75], v[76:77]
	v_fmac_f64_e32 v[70:71], s[10:11], v[72:73]
	v_fmac_f64_e32 v[66:67], s[6:7], v[74:75]
	;; [unrolled: 1-line block ×3, first 2 shown]
	v_add_f64 v[74:75], v[48:49], v[60:61]
	v_fmac_f64_e32 v[16:17], -0.5, v[74:75]
	v_fma_f64 v[76:77], s[8:9], v[72:73], v[16:17]
	v_fmac_f64_e32 v[16:17], s[0:1], v[72:73]
	v_fmac_f64_e32 v[76:77], s[2:3], v[64:65]
	;; [unrolled: 1-line block ×3, first 2 shown]
	v_add_f64 v[64:65], v[18:19], v[50:51]
	v_add_f64 v[74:75], v[52:53], -v[48:49]
	v_add_f64 v[78:79], v[56:57], -v[60:61]
	v_add_f64 v[64:65], v[64:65], v[54:55]
	v_add_f64 v[74:75], v[74:75], v[78:79]
	v_add_f64 v[64:65], v[64:65], v[58:59]
	v_fmac_f64_e32 v[76:77], s[6:7], v[74:75]
	v_fmac_f64_e32 v[16:17], s[6:7], v[74:75]
	v_add_f64 v[74:75], v[64:65], v[62:63]
	v_add_f64 v[64:65], v[54:55], v[58:59]
	v_fma_f64 v[72:73], -0.5, v[64:65], v[18:19]
	v_add_f64 v[48:49], v[48:49], -v[60:61]
	v_fma_f64 v[78:79], s[8:9], v[48:49], v[72:73]
	v_add_f64 v[52:53], v[52:53], -v[56:57]
	v_add_f64 v[56:57], v[50:51], -v[54:55]
	;; [unrolled: 1-line block ×3, first 2 shown]
	v_fmac_f64_e32 v[72:73], s[0:1], v[48:49]
	v_fmac_f64_e32 v[78:79], s[10:11], v[52:53]
	v_add_f64 v[56:57], v[56:57], v[60:61]
	v_fmac_f64_e32 v[72:73], s[2:3], v[52:53]
	v_fmac_f64_e32 v[78:79], s[6:7], v[56:57]
	;; [unrolled: 1-line block ×3, first 2 shown]
	v_add_f64 v[56:57], v[50:51], v[62:63]
	v_fmac_f64_e32 v[18:19], -0.5, v[56:57]
	v_fma_f64 v[122:123], s[0:1], v[52:53], v[18:19]
	v_add_f64 v[50:51], v[54:55], -v[50:51]
	v_add_f64 v[54:55], v[58:59], -v[62:63]
	v_fmac_f64_e32 v[18:19], s[8:9], v[52:53]
	v_fmac_f64_e32 v[122:123], s[10:11], v[48:49]
	v_add_f64 v[50:51], v[50:51], v[54:55]
	v_fmac_f64_e32 v[18:19], s[2:3], v[48:49]
	v_fmac_f64_e32 v[122:123], s[6:7], v[50:51]
	;; [unrolled: 1-line block ×3, first 2 shown]
	v_mul_f64 v[150:151], v[66:67], s[10:11]
	v_mul_f64 v[142:143], v[78:79], s[2:3]
	;; [unrolled: 1-line block ×3, first 2 shown]
	v_fmac_f64_e32 v[150:151], s[16:17], v[78:79]
	v_mul_f64 v[78:79], v[122:123], s[6:7]
	v_mul_f64 v[152:153], v[18:19], s[14:15]
	;; [unrolled: 1-line block ×3, first 2 shown]
	v_fmac_f64_e32 v[78:79], s[8:9], v[76:77]
	v_fmac_f64_e32 v[152:153], s[8:9], v[16:17]
	v_fmac_f64_e32 v[122:123], s[10:11], v[70:71]
	v_fmac_f64_e32 v[142:143], s[16:17], v[66:67]
	v_mul_f64 v[146:147], v[18:19], s[0:1]
	v_add_f64 v[50:51], v[140:141], v[78:79]
	v_add_f64 v[66:67], v[2:3], v[152:153]
	;; [unrolled: 1-line block ×3, first 2 shown]
	v_add_f64 v[18:19], v[140:141], -v[78:79]
	v_add_f64 v[78:79], v[2:3], -v[152:153]
	v_add_f64 v[2:3], v[120:121], -v[122:123]
	v_mul_u32_u24_e32 v120, 10, v128
	v_mul_f64 v[148:149], v[72:73], s[2:3]
	v_lshlrev_b32_e32 v120, 4, v120
	v_fmac_f64_e32 v[144:145], s[6:7], v[76:77]
	v_fmac_f64_e32 v[146:147], s[14:15], v[16:17]
	;; [unrolled: 1-line block ×3, first 2 shown]
	v_add3_u32 v120, 0, v120, v164
	v_add_f64 v[56:57], v[130:131], v[68:69]
	v_add_f64 v[52:53], v[134:135], v[142:143]
	v_add_f64 v[48:49], v[138:139], v[144:145]
	v_add_f64 v[64:65], v[0:1], v[146:147]
	v_add_f64 v[60:61], v[124:125], v[148:149]
	v_add_f64 v[58:59], v[132:133], v[74:75]
	v_add_f64 v[54:55], v[136:137], v[150:151]
	v_add_f64 v[72:73], v[130:131], -v[68:69]
	v_add_f64 v[68:69], v[134:135], -v[142:143]
	;; [unrolled: 1-line block ×7, first 2 shown]
	s_waitcnt lgkmcnt(0)
	; wave barrier
	ds_write_b128 v120, v[12:15]
	ds_write_b128 v120, v[8:11] offset:16
	ds_write_b128 v120, v[4:7] offset:32
	;; [unrolled: 1-line block ×29, first 2 shown]
	v_lshlrev_b32_e32 v120, 2, v128
	v_mov_b32_e32 v121, 0
	v_lshl_add_u64 v[0:1], v[120:121], 4, s[4:5]
	s_waitcnt lgkmcnt(0)
	; wave barrier
	s_waitcnt lgkmcnt(0)
	global_load_dwordx4 v[36:39], v[0:1], off
	global_load_dwordx4 v[32:35], v[0:1], off offset:16
	global_load_dwordx4 v[28:31], v[0:1], off offset:32
	;; [unrolled: 1-line block ×3, first 2 shown]
	v_lshlrev_b32_e32 v120, 2, v167
	v_lshl_add_u64 v[0:1], v[120:121], 4, s[4:5]
	s_movk_i32 s12, 0xcd
	global_load_dwordx4 v[60:63], v[0:1], off
	global_load_dwordx4 v[44:47], v[0:1], off offset:16
	v_mul_lo_u16_sdwa v120, v166, s12 dst_sel:DWORD dst_unused:UNUSED_PAD src0_sel:BYTE_0 src1_sel:DWORD
	v_lshrrev_b16_e32 v120, 11, v120
	ds_read_b128 v[20:23], v163
	ds_read_b128 v[16:19], v129 offset:80
	ds_read_b128 v[116:119], v129 offset:480
	;; [unrolled: 1-line block ×9, first 2 shown]
	global_load_dwordx4 v[40:43], v[0:1], off offset:48
	global_load_dwordx4 v[52:55], v[0:1], off offset:32
	v_mul_lo_u16_e32 v120, 10, v120
	v_sub_u16_e32 v120, v166, v120
	v_mov_b32_e32 v134, 6
	v_lshlrev_b32_sdwa v135, v134, v120 dst_sel:DWORD dst_unused:UNUSED_PAD src0_sel:DWORD src1_sel:BYTE_0
	ds_read_b128 v[12:15], v129 offset:160
	ds_read_b128 v[8:11], v129 offset:240
	;; [unrolled: 1-line block ×12, first 2 shown]
	global_load_dwordx4 v[170:173], v135, s[4:5] offset:16
	global_load_dwordx4 v[174:177], v135, s[4:5]
	s_waitcnt vmcnt(9) lgkmcnt(14)
	v_mul_f64 v[122:123], v[118:119], v[38:39]
	s_waitcnt vmcnt(8)
	v_mul_f64 v[132:133], v[114:115], v[34:35]
	v_fmac_f64_e32 v[122:123], v[116:117], v[36:37]
	v_mul_f64 v[116:117], v[116:117], v[38:39]
	v_fmac_f64_e32 v[132:133], v[112:113], v[32:33]
	v_mul_f64 v[112:113], v[112:113], v[34:35]
	v_fma_f64 v[124:125], v[118:119], v[36:37], -v[116:117]
	v_fma_f64 v[130:131], v[114:115], v[32:33], -v[112:113]
	global_load_dwordx4 v[112:115], v135, s[4:5] offset:48
	global_load_dwordx4 v[116:119], v135, s[4:5] offset:32
	v_mul_lo_u16_sdwa v135, v165, s12 dst_sel:DWORD dst_unused:UNUSED_PAD src0_sel:BYTE_0 src1_sel:DWORD
	v_lshrrev_b16_e32 v135, 11, v135
	v_mul_lo_u16_e32 v135, 10, v135
	v_sub_u16_e32 v168, v165, v135
	v_lshlrev_b32_sdwa v134, v134, v168 dst_sel:DWORD dst_unused:UNUSED_PAD src0_sel:DWORD src1_sel:BYTE_0
	global_load_dwordx4 v[178:181], v134, s[4:5] offset:16
	global_load_dwordx4 v[182:185], v134, s[4:5]
	s_waitcnt lgkmcnt(9)
	v_mul_f64 v[152:153], v[110:111], v[38:39]
	v_mul_f64 v[38:39], v[108:109], v[38:39]
	v_fmac_f64_e32 v[152:153], v[108:109], v[36:37]
	v_fma_f64 v[140:141], v[110:111], v[36:37], -v[38:39]
	global_load_dwordx4 v[108:111], v134, s[4:5] offset:48
	global_load_dwordx4 v[186:189], v134, s[4:5] offset:32
	s_waitcnt vmcnt(13)
	v_mul_f64 v[136:137], v[102:103], v[30:31]
	v_fmac_f64_e32 v[136:137], v[100:101], v[28:29]
	v_mul_f64 v[100:101], v[100:101], v[30:31]
	s_waitcnt lgkmcnt(5)
	v_mul_f64 v[158:159], v[98:99], v[30:31]
	v_mul_f64 v[30:31], v[96:97], v[30:31]
	v_fma_f64 v[100:101], v[102:103], v[28:29], -v[100:101]
	v_fmac_f64_e32 v[158:159], v[96:97], v[28:29]
	v_fma_f64 v[148:149], v[98:99], v[28:29], -v[30:31]
	s_waitcnt vmcnt(12)
	v_mul_f64 v[96:97], v[90:91], v[26:27]
	v_mul_f64 v[28:29], v[88:89], v[26:27]
	v_fmac_f64_e32 v[96:97], v[88:89], v[24:25]
	v_fma_f64 v[90:91], v[90:91], v[24:25], -v[28:29]
	s_waitcnt vmcnt(11)
	v_mul_f64 v[88:89], v[82:83], v[62:63]
	v_mul_f64 v[28:29], v[80:81], v[62:63]
	;; [unrolled: 1-line block ×3, first 2 shown]
	v_fmac_f64_e32 v[88:89], v[80:81], v[60:61]
	v_fma_f64 v[80:81], v[82:83], v[60:61], -v[28:29]
	s_waitcnt lgkmcnt(3)
	v_mul_f64 v[82:83], v[94:95], v[26:27]
	v_mul_f64 v[26:27], v[92:93], v[26:27]
	v_fmac_f64_e32 v[156:157], v[104:105], v[32:33]
	v_mul_f64 v[34:35], v[104:105], v[34:35]
	ds_read_b128 v[102:105], v129 offset:800
	ds_read_b128 v[190:193], v129 offset:880
	v_fmac_f64_e32 v[82:83], v[92:93], v[24:25]
	v_fma_f64 v[24:25], v[94:95], v[24:25], -v[26:27]
	v_mul_f64 v[30:31], v[86:87], v[62:63]
	v_mul_f64 v[26:27], v[84:85], v[62:63]
	v_fma_f64 v[144:145], v[106:107], v[32:33], -v[34:35]
	v_fmac_f64_e32 v[30:31], v[84:85], v[60:61]
	v_fma_f64 v[28:29], v[86:87], v[60:61], -v[26:27]
	s_waitcnt vmcnt(10)
	v_mul_f64 v[84:85], v[70:71], v[46:47]
	v_mul_f64 v[26:27], v[68:69], v[46:47]
	s_waitcnt vmcnt(8)
	v_mul_f64 v[34:35], v[72:73], v[54:55]
	v_fmac_f64_e32 v[84:85], v[68:69], v[44:45]
	v_fma_f64 v[26:27], v[70:71], v[44:45], -v[26:27]
	v_mul_f64 v[68:69], v[66:67], v[54:55]
	v_mul_f64 v[32:33], v[64:65], v[54:55]
	;; [unrolled: 1-line block ×3, first 2 shown]
	v_fma_f64 v[36:37], v[74:75], v[52:53], -v[34:35]
	v_mul_f64 v[34:35], v[48:49], v[42:43]
	v_fmac_f64_e32 v[68:69], v[64:65], v[52:53]
	v_fma_f64 v[64:65], v[66:67], v[52:53], -v[32:33]
	v_fmac_f64_e32 v[70:71], v[72:73], v[52:53]
	v_mul_f64 v[72:73], v[50:51], v[42:43]
	v_fma_f64 v[66:67], v[50:51], v[40:41], -v[34:35]
	s_waitcnt lgkmcnt(4)
	v_mul_f64 v[74:75], v[58:59], v[42:43]
	v_mul_f64 v[34:35], v[56:57], v[42:43]
	;; [unrolled: 1-line block ×4, first 2 shown]
	v_fmac_f64_e32 v[72:73], v[48:49], v[40:41]
	v_fmac_f64_e32 v[74:75], v[56:57], v[40:41]
	v_fma_f64 v[40:41], v[58:59], v[40:41], -v[34:35]
	s_waitcnt vmcnt(6) lgkmcnt(1)
	v_mul_f64 v[34:35], v[104:105], v[176:177]
	v_mul_f64 v[42:43], v[102:103], v[176:177]
	ds_read_b128 v[60:63], v129 offset:1280
	ds_read_b128 v[92:95], v129 offset:1360
	v_fmac_f64_e32 v[38:39], v[76:77], v[44:45]
	v_fma_f64 v[32:33], v[78:79], v[44:45], -v[32:33]
	ds_read_b128 v[76:79], v129 offset:1760
	ds_read_b128 v[194:197], v129 offset:1840
	v_fmac_f64_e32 v[34:35], v[102:103], v[174:175]
	v_fma_f64 v[44:45], v[104:105], v[174:175], -v[42:43]
	ds_read_b128 v[56:59], v129 offset:2240
	ds_read_b128 v[102:105], v129 offset:2320
	s_waitcnt lgkmcnt(5)
	v_mul_f64 v[42:43], v[62:63], v[172:173]
	v_fmac_f64_e32 v[42:43], v[60:61], v[170:171]
	v_mul_f64 v[46:47], v[60:61], v[172:173]
	v_fma_f64 v[46:47], v[62:63], v[170:171], -v[46:47]
	v_add_f64 v[62:63], v[130:131], -v[100:101]
	v_add_f64 v[86:87], v[90:91], -v[100:101]
	s_waitcnt vmcnt(5) lgkmcnt(0)
	v_mul_f64 v[54:55], v[58:59], v[114:115]
	v_fmac_f64_e32 v[54:55], v[56:57], v[112:113]
	v_mul_f64 v[50:51], v[56:57], v[114:115]
	s_waitcnt vmcnt(4)
	v_mul_f64 v[52:53], v[78:79], v[118:119]
	v_mul_f64 v[48:49], v[76:77], v[118:119]
	v_fmac_f64_e32 v[52:53], v[76:77], v[116:117]
	v_fma_f64 v[48:49], v[78:79], v[116:117], -v[48:49]
	s_waitcnt vmcnt(2)
	v_mul_f64 v[56:57], v[190:191], v[184:185]
	v_fma_f64 v[134:135], v[192:193], v[182:183], -v[56:57]
	v_mul_f64 v[56:57], v[92:93], v[180:181]
	v_fma_f64 v[138:139], v[94:95], v[178:179], -v[56:57]
	v_fma_f64 v[50:51], v[58:59], v[112:113], -v[50:51]
	s_waitcnt vmcnt(0)
	v_mul_f64 v[56:57], v[194:195], v[188:189]
	v_fma_f64 v[142:143], v[196:197], v[186:187], -v[56:57]
	v_mul_f64 v[56:57], v[102:103], v[110:111]
	v_fma_f64 v[150:151], v[104:105], v[108:109], -v[56:57]
	v_add_f64 v[56:57], v[20:21], v[122:123]
	v_add_f64 v[56:57], v[56:57], v[132:133]
	;; [unrolled: 1-line block ×5, first 2 shown]
	v_fma_f64 v[60:61], -0.5, v[56:57], v[20:21]
	v_add_f64 v[56:57], v[124:125], -v[90:91]
	v_fma_f64 v[112:113], s[0:1], v[56:57], v[60:61]
	v_add_f64 v[76:77], v[122:123], -v[132:133]
	v_add_f64 v[78:79], v[96:97], -v[136:137]
	v_fmac_f64_e32 v[60:61], s[8:9], v[56:57]
	v_fmac_f64_e32 v[112:113], s[2:3], v[62:63]
	v_add_f64 v[76:77], v[76:77], v[78:79]
	v_fmac_f64_e32 v[60:61], s[10:11], v[62:63]
	v_fmac_f64_e32 v[112:113], s[6:7], v[76:77]
	;; [unrolled: 1-line block ×3, first 2 shown]
	v_add_f64 v[76:77], v[122:123], v[96:97]
	v_mul_f64 v[160:161], v[104:105], v[110:111]
	v_fmac_f64_e32 v[20:21], -0.5, v[76:77]
	v_fmac_f64_e32 v[160:161], v[102:103], v[108:109]
	v_fma_f64 v[108:109], s[8:9], v[62:63], v[20:21]
	v_fmac_f64_e32 v[20:21], s[0:1], v[62:63]
	v_fmac_f64_e32 v[108:109], s[2:3], v[56:57]
	;; [unrolled: 1-line block ×3, first 2 shown]
	v_add_f64 v[56:57], v[22:23], v[124:125]
	v_add_f64 v[56:57], v[56:57], v[130:131]
	;; [unrolled: 1-line block ×3, first 2 shown]
	v_add_f64 v[76:77], v[132:133], -v[122:123]
	v_add_f64 v[78:79], v[136:137], -v[96:97]
	v_add_f64 v[118:119], v[56:57], v[90:91]
	v_add_f64 v[56:57], v[130:131], v[100:101]
	;; [unrolled: 1-line block ×3, first 2 shown]
	v_fma_f64 v[62:63], -0.5, v[56:57], v[22:23]
	v_add_f64 v[56:57], v[122:123], -v[96:97]
	v_fmac_f64_e32 v[108:109], s[6:7], v[76:77]
	v_fmac_f64_e32 v[20:21], s[6:7], v[76:77]
	v_fma_f64 v[114:115], s[8:9], v[56:57], v[62:63]
	v_add_f64 v[76:77], v[132:133], -v[136:137]
	v_add_f64 v[78:79], v[124:125], -v[130:131]
	v_fmac_f64_e32 v[62:63], s[0:1], v[56:57]
	v_fmac_f64_e32 v[114:115], s[10:11], v[76:77]
	v_add_f64 v[78:79], v[78:79], v[86:87]
	v_fmac_f64_e32 v[62:63], s[2:3], v[76:77]
	v_fmac_f64_e32 v[114:115], s[6:7], v[78:79]
	;; [unrolled: 1-line block ×3, first 2 shown]
	v_add_f64 v[78:79], v[124:125], v[90:91]
	v_fmac_f64_e32 v[22:23], -0.5, v[78:79]
	v_fma_f64 v[110:111], s[0:1], v[76:77], v[22:23]
	v_fmac_f64_e32 v[22:23], s[8:9], v[76:77]
	v_fmac_f64_e32 v[110:111], s[10:11], v[56:57]
	;; [unrolled: 1-line block ×3, first 2 shown]
	v_add_f64 v[56:57], v[16:17], v[88:89]
	v_add_f64 v[56:57], v[56:57], v[84:85]
	;; [unrolled: 1-line block ×3, first 2 shown]
	v_add_f64 v[78:79], v[130:131], -v[124:125]
	v_add_f64 v[86:87], v[100:101], -v[90:91]
	v_add_f64 v[104:105], v[56:57], v[72:73]
	v_add_f64 v[56:57], v[84:85], v[68:69]
	;; [unrolled: 1-line block ×3, first 2 shown]
	v_fma_f64 v[76:77], -0.5, v[56:57], v[16:17]
	v_add_f64 v[56:57], v[80:81], -v[66:67]
	v_fmac_f64_e32 v[110:111], s[6:7], v[78:79]
	v_fmac_f64_e32 v[22:23], s[6:7], v[78:79]
	v_fma_f64 v[100:101], s[0:1], v[56:57], v[76:77]
	v_add_f64 v[78:79], v[26:27], -v[64:65]
	v_add_f64 v[86:87], v[88:89], -v[84:85]
	;; [unrolled: 1-line block ×3, first 2 shown]
	v_fmac_f64_e32 v[76:77], s[8:9], v[56:57]
	v_fmac_f64_e32 v[100:101], s[2:3], v[78:79]
	v_add_f64 v[86:87], v[86:87], v[90:91]
	v_fmac_f64_e32 v[76:77], s[10:11], v[78:79]
	v_fmac_f64_e32 v[100:101], s[6:7], v[86:87]
	;; [unrolled: 1-line block ×3, first 2 shown]
	v_add_f64 v[86:87], v[88:89], v[72:73]
	v_mul_f64 v[146:147], v[94:95], v[180:181]
	v_fmac_f64_e32 v[16:17], -0.5, v[86:87]
	v_fmac_f64_e32 v[146:147], v[92:93], v[178:179]
	v_fma_f64 v[92:93], s[8:9], v[78:79], v[16:17]
	v_fmac_f64_e32 v[16:17], s[0:1], v[78:79]
	v_fmac_f64_e32 v[92:93], s[2:3], v[56:57]
	v_fmac_f64_e32 v[16:17], s[10:11], v[56:57]
	v_add_f64 v[56:57], v[18:19], v[80:81]
	v_add_f64 v[56:57], v[56:57], v[26:27]
	;; [unrolled: 1-line block ×5, first 2 shown]
	v_fma_f64 v[78:79], -0.5, v[56:57], v[18:19]
	v_add_f64 v[56:57], v[88:89], -v[72:73]
	v_add_f64 v[86:87], v[84:85], -v[88:89]
	;; [unrolled: 1-line block ×3, first 2 shown]
	v_fma_f64 v[102:103], s[8:9], v[56:57], v[78:79]
	v_add_f64 v[68:69], v[84:85], -v[68:69]
	v_add_f64 v[72:73], v[80:81], -v[26:27]
	v_add_f64 v[84:85], v[66:67], -v[64:65]
	v_fmac_f64_e32 v[78:79], s[0:1], v[56:57]
	v_fmac_f64_e32 v[102:103], s[10:11], v[68:69]
	v_add_f64 v[72:73], v[72:73], v[84:85]
	v_fmac_f64_e32 v[78:79], s[2:3], v[68:69]
	v_fmac_f64_e32 v[102:103], s[6:7], v[72:73]
	v_fmac_f64_e32 v[78:79], s[6:7], v[72:73]
	v_add_f64 v[72:73], v[80:81], v[66:67]
	v_fmac_f64_e32 v[18:19], -0.5, v[72:73]
	v_fma_f64 v[94:95], s[0:1], v[68:69], v[18:19]
	v_add_f64 v[26:27], v[26:27], -v[80:81]
	v_add_f64 v[64:65], v[64:65], -v[66:67]
	v_fmac_f64_e32 v[18:19], s[8:9], v[68:69]
	v_fmac_f64_e32 v[94:95], s[10:11], v[56:57]
	v_add_f64 v[26:27], v[26:27], v[64:65]
	v_fmac_f64_e32 v[18:19], s[2:3], v[56:57]
	v_fmac_f64_e32 v[94:95], s[6:7], v[26:27]
	;; [unrolled: 1-line block ×3, first 2 shown]
	v_add_f64 v[26:27], v[12:13], v[152:153]
	v_add_f64 v[26:27], v[26:27], v[156:157]
	v_add_f64 v[26:27], v[26:27], v[158:159]
	v_add_f64 v[96:97], v[26:27], v[82:83]
	v_add_f64 v[26:27], v[156:157], v[158:159]
	v_fma_f64 v[64:65], -0.5, v[26:27], v[12:13]
	v_add_f64 v[26:27], v[140:141], -v[24:25]
	v_fma_f64 v[88:89], s[0:1], v[26:27], v[64:65]
	v_add_f64 v[56:57], v[144:145], -v[148:149]
	v_add_f64 v[66:67], v[152:153], -v[156:157]
	;; [unrolled: 1-line block ×3, first 2 shown]
	v_fmac_f64_e32 v[64:65], s[8:9], v[26:27]
	v_fmac_f64_e32 v[88:89], s[2:3], v[56:57]
	v_add_f64 v[66:67], v[66:67], v[68:69]
	v_fmac_f64_e32 v[64:65], s[10:11], v[56:57]
	v_fmac_f64_e32 v[88:89], s[6:7], v[66:67]
	;; [unrolled: 1-line block ×3, first 2 shown]
	v_add_f64 v[66:67], v[152:153], v[82:83]
	v_fmac_f64_e32 v[12:13], -0.5, v[66:67]
	v_fma_f64 v[80:81], s[8:9], v[56:57], v[12:13]
	v_fmac_f64_e32 v[12:13], s[0:1], v[56:57]
	v_fmac_f64_e32 v[80:81], s[2:3], v[26:27]
	;; [unrolled: 1-line block ×3, first 2 shown]
	v_add_f64 v[26:27], v[14:15], v[140:141]
	v_add_f64 v[26:27], v[26:27], v[144:145]
	v_add_f64 v[66:67], v[156:157], -v[152:153]
	v_add_f64 v[68:69], v[158:159], -v[82:83]
	v_add_f64 v[26:27], v[26:27], v[148:149]
	v_add_f64 v[66:67], v[66:67], v[68:69]
	;; [unrolled: 1-line block ×4, first 2 shown]
	v_fmac_f64_e32 v[80:81], s[6:7], v[66:67]
	v_fmac_f64_e32 v[12:13], s[6:7], v[66:67]
	v_fma_f64 v[66:67], -0.5, v[26:27], v[14:15]
	v_add_f64 v[26:27], v[152:153], -v[82:83]
	v_add_f64 v[86:87], v[86:87], v[90:91]
	v_fma_f64 v[90:91], s[8:9], v[26:27], v[66:67]
	v_add_f64 v[56:57], v[156:157], -v[158:159]
	v_add_f64 v[68:69], v[140:141], -v[144:145]
	;; [unrolled: 1-line block ×3, first 2 shown]
	v_fmac_f64_e32 v[66:67], s[0:1], v[26:27]
	v_fmac_f64_e32 v[90:91], s[10:11], v[56:57]
	v_add_f64 v[68:69], v[68:69], v[72:73]
	v_fmac_f64_e32 v[66:67], s[2:3], v[56:57]
	v_fmac_f64_e32 v[90:91], s[6:7], v[68:69]
	;; [unrolled: 1-line block ×3, first 2 shown]
	v_add_f64 v[68:69], v[140:141], v[24:25]
	v_fmac_f64_e32 v[14:15], -0.5, v[68:69]
	v_fma_f64 v[82:83], s[0:1], v[56:57], v[14:15]
	v_add_f64 v[68:69], v[144:145], -v[140:141]
	v_add_f64 v[24:25], v[148:149], -v[24:25]
	v_fmac_f64_e32 v[14:15], s[8:9], v[56:57]
	v_fmac_f64_e32 v[82:83], s[10:11], v[26:27]
	v_add_f64 v[24:25], v[68:69], v[24:25]
	v_fmac_f64_e32 v[14:15], s[2:3], v[26:27]
	v_fmac_f64_e32 v[82:83], s[6:7], v[24:25]
	;; [unrolled: 1-line block ×3, first 2 shown]
	v_add_f64 v[24:25], v[8:9], v[30:31]
	v_add_f64 v[24:25], v[24:25], v[38:39]
	;; [unrolled: 1-line block ×5, first 2 shown]
	v_fma_f64 v[24:25], -0.5, v[24:25], v[8:9]
	v_add_f64 v[26:27], v[28:29], -v[40:41]
	v_fmac_f64_e32 v[92:93], s[6:7], v[86:87]
	v_fmac_f64_e32 v[16:17], s[6:7], v[86:87]
	v_fma_f64 v[72:73], s[0:1], v[26:27], v[24:25]
	v_add_f64 v[56:57], v[32:33], -v[36:37]
	v_add_f64 v[68:69], v[30:31], -v[38:39]
	;; [unrolled: 1-line block ×3, first 2 shown]
	v_fmac_f64_e32 v[24:25], s[8:9], v[26:27]
	v_fmac_f64_e32 v[72:73], s[2:3], v[56:57]
	v_add_f64 v[68:69], v[68:69], v[86:87]
	v_fmac_f64_e32 v[24:25], s[10:11], v[56:57]
	v_fmac_f64_e32 v[72:73], s[6:7], v[68:69]
	;; [unrolled: 1-line block ×3, first 2 shown]
	v_add_f64 v[68:69], v[30:31], v[74:75]
	v_fmac_f64_e32 v[8:9], -0.5, v[68:69]
	v_fma_f64 v[68:69], s[8:9], v[56:57], v[8:9]
	v_fmac_f64_e32 v[8:9], s[0:1], v[56:57]
	v_fmac_f64_e32 v[68:69], s[2:3], v[26:27]
	;; [unrolled: 1-line block ×3, first 2 shown]
	v_add_f64 v[26:27], v[10:11], v[28:29]
	v_add_f64 v[86:87], v[38:39], -v[30:31]
	v_add_f64 v[122:123], v[70:71], -v[74:75]
	v_add_f64 v[26:27], v[26:27], v[32:33]
	v_add_f64 v[86:87], v[86:87], v[122:123]
	;; [unrolled: 1-line block ×3, first 2 shown]
	v_fmac_f64_e32 v[68:69], s[6:7], v[86:87]
	v_fmac_f64_e32 v[8:9], s[6:7], v[86:87]
	v_add_f64 v[86:87], v[26:27], v[40:41]
	v_add_f64 v[26:27], v[32:33], v[36:37]
	v_fma_f64 v[26:27], -0.5, v[26:27], v[10:11]
	v_add_f64 v[30:31], v[30:31], -v[74:75]
	v_fma_f64 v[74:75], s[8:9], v[30:31], v[26:27]
	v_add_f64 v[38:39], v[38:39], -v[70:71]
	v_add_f64 v[56:57], v[28:29], -v[32:33]
	v_add_f64 v[70:71], v[40:41], -v[36:37]
	v_fmac_f64_e32 v[26:27], s[0:1], v[30:31]
	v_fmac_f64_e32 v[74:75], s[10:11], v[38:39]
	v_add_f64 v[56:57], v[56:57], v[70:71]
	v_fmac_f64_e32 v[26:27], s[2:3], v[38:39]
	v_fmac_f64_e32 v[74:75], s[6:7], v[56:57]
	;; [unrolled: 1-line block ×3, first 2 shown]
	v_add_f64 v[56:57], v[28:29], v[40:41]
	v_fmac_f64_e32 v[10:11], -0.5, v[56:57]
	v_fma_f64 v[70:71], s[0:1], v[38:39], v[10:11]
	v_add_f64 v[28:29], v[32:33], -v[28:29]
	v_add_f64 v[32:33], v[36:37], -v[40:41]
	v_fmac_f64_e32 v[10:11], s[8:9], v[38:39]
	v_fmac_f64_e32 v[70:71], s[10:11], v[30:31]
	v_add_f64 v[28:29], v[28:29], v[32:33]
	v_fmac_f64_e32 v[10:11], s[2:3], v[30:31]
	v_fmac_f64_e32 v[70:71], s[6:7], v[28:29]
	;; [unrolled: 1-line block ×3, first 2 shown]
	v_add_f64 v[28:29], v[4:5], v[34:35]
	v_add_f64 v[28:29], v[28:29], v[42:43]
	;; [unrolled: 1-line block ×5, first 2 shown]
	v_fma_f64 v[28:29], -0.5, v[28:29], v[4:5]
	v_add_f64 v[30:31], v[44:45], -v[50:51]
	v_fma_f64 v[32:33], s[0:1], v[30:31], v[28:29]
	v_add_f64 v[38:39], v[46:47], -v[48:49]
	v_add_f64 v[40:41], v[34:35], -v[42:43]
	;; [unrolled: 1-line block ×3, first 2 shown]
	v_fmac_f64_e32 v[28:29], s[8:9], v[30:31]
	v_fmac_f64_e32 v[32:33], s[2:3], v[38:39]
	v_add_f64 v[40:41], v[40:41], v[56:57]
	v_fmac_f64_e32 v[28:29], s[10:11], v[38:39]
	v_fmac_f64_e32 v[32:33], s[6:7], v[40:41]
	;; [unrolled: 1-line block ×3, first 2 shown]
	v_add_f64 v[40:41], v[34:35], v[54:55]
	v_fmac_f64_e32 v[4:5], -0.5, v[40:41]
	v_fma_f64 v[40:41], s[8:9], v[38:39], v[4:5]
	v_fmac_f64_e32 v[4:5], s[0:1], v[38:39]
	v_fmac_f64_e32 v[40:41], s[2:3], v[30:31]
	;; [unrolled: 1-line block ×3, first 2 shown]
	v_add_f64 v[30:31], v[6:7], v[44:45]
	v_add_f64 v[30:31], v[30:31], v[46:47]
	;; [unrolled: 1-line block ×3, first 2 shown]
	v_add_f64 v[56:57], v[42:43], -v[34:35]
	v_add_f64 v[122:123], v[52:53], -v[54:55]
	v_add_f64 v[38:39], v[30:31], v[50:51]
	v_add_f64 v[30:31], v[46:47], v[48:49]
	;; [unrolled: 1-line block ×3, first 2 shown]
	v_fma_f64 v[30:31], -0.5, v[30:31], v[6:7]
	v_add_f64 v[54:55], v[34:35], -v[54:55]
	v_fmac_f64_e32 v[40:41], s[6:7], v[56:57]
	v_fmac_f64_e32 v[4:5], s[6:7], v[56:57]
	v_fma_f64 v[34:35], s[8:9], v[54:55], v[30:31]
	v_add_f64 v[52:53], v[42:43], -v[52:53]
	v_add_f64 v[42:43], v[44:45], -v[46:47]
	;; [unrolled: 1-line block ×3, first 2 shown]
	v_fmac_f64_e32 v[30:31], s[0:1], v[54:55]
	v_fmac_f64_e32 v[34:35], s[10:11], v[52:53]
	v_add_f64 v[42:43], v[42:43], v[56:57]
	v_fmac_f64_e32 v[30:31], s[2:3], v[52:53]
	v_fmac_f64_e32 v[34:35], s[6:7], v[42:43]
	;; [unrolled: 1-line block ×3, first 2 shown]
	v_add_f64 v[42:43], v[44:45], v[50:51]
	v_fmac_f64_e32 v[6:7], -0.5, v[42:43]
	v_mul_f64 v[58:59], v[192:193], v[184:185]
	v_fma_f64 v[42:43], s[0:1], v[52:53], v[6:7]
	v_add_f64 v[44:45], v[46:47], -v[44:45]
	v_add_f64 v[46:47], v[48:49], -v[50:51]
	v_fmac_f64_e32 v[6:7], s[8:9], v[52:53]
	v_fmac_f64_e32 v[58:59], v[190:191], v[182:183]
	;; [unrolled: 1-line block ×3, first 2 shown]
	v_add_f64 v[44:45], v[44:45], v[46:47]
	v_fmac_f64_e32 v[6:7], s[2:3], v[54:55]
	v_mul_f64 v[154:155], v[196:197], v[188:189]
	v_fmac_f64_e32 v[42:43], s[6:7], v[44:45]
	v_fmac_f64_e32 v[6:7], s[6:7], v[44:45]
	v_add_f64 v[44:45], v[0:1], v[58:59]
	v_fmac_f64_e32 v[154:155], v[194:195], v[186:187]
	v_add_f64 v[44:45], v[44:45], v[146:147]
	v_add_f64 v[44:45], v[44:45], v[154:155]
	;; [unrolled: 1-line block ×4, first 2 shown]
	v_fma_f64 v[44:45], -0.5, v[44:45], v[0:1]
	v_add_f64 v[46:47], v[134:135], -v[150:151]
	v_fma_f64 v[48:49], s[0:1], v[46:47], v[44:45]
	v_add_f64 v[50:51], v[138:139], -v[142:143]
	v_add_f64 v[54:55], v[58:59], -v[146:147]
	;; [unrolled: 1-line block ×3, first 2 shown]
	v_fmac_f64_e32 v[44:45], s[8:9], v[46:47]
	v_fmac_f64_e32 v[48:49], s[2:3], v[50:51]
	v_add_f64 v[54:55], v[54:55], v[56:57]
	v_fmac_f64_e32 v[44:45], s[10:11], v[50:51]
	v_fmac_f64_e32 v[48:49], s[6:7], v[54:55]
	;; [unrolled: 1-line block ×3, first 2 shown]
	v_add_f64 v[54:55], v[58:59], v[160:161]
	v_fmac_f64_e32 v[0:1], -0.5, v[54:55]
	v_fma_f64 v[56:57], s[8:9], v[50:51], v[0:1]
	v_fmac_f64_e32 v[0:1], s[0:1], v[50:51]
	v_fmac_f64_e32 v[56:57], s[2:3], v[46:47]
	v_fmac_f64_e32 v[0:1], s[10:11], v[46:47]
	v_add_f64 v[46:47], v[2:3], v[134:135]
	v_add_f64 v[54:55], v[146:147], -v[58:59]
	v_add_f64 v[122:123], v[154:155], -v[160:161]
	v_add_f64 v[46:47], v[46:47], v[138:139]
	v_add_f64 v[54:55], v[54:55], v[122:123]
	;; [unrolled: 1-line block ×3, first 2 shown]
	v_fmac_f64_e32 v[56:57], s[6:7], v[54:55]
	v_fmac_f64_e32 v[0:1], s[6:7], v[54:55]
	v_add_f64 v[54:55], v[46:47], v[150:151]
	v_add_f64 v[46:47], v[138:139], v[142:143]
	v_fma_f64 v[46:47], -0.5, v[46:47], v[2:3]
	v_add_f64 v[122:123], v[58:59], -v[160:161]
	v_fma_f64 v[50:51], s[8:9], v[122:123], v[46:47]
	v_add_f64 v[124:125], v[146:147], -v[154:155]
	v_add_f64 v[58:59], v[134:135], -v[138:139]
	;; [unrolled: 1-line block ×3, first 2 shown]
	v_fmac_f64_e32 v[46:47], s[0:1], v[122:123]
	v_fmac_f64_e32 v[50:51], s[10:11], v[124:125]
	v_add_f64 v[58:59], v[58:59], v[130:131]
	v_fmac_f64_e32 v[46:47], s[2:3], v[124:125]
	; wave barrier
	ds_write_b128 v129, v[116:119]
	ds_write_b128 v129, v[112:115] offset:160
	ds_write_b128 v129, v[108:111] offset:320
	;; [unrolled: 1-line block ×19, first 2 shown]
	v_mov_b32_e32 v8, 4
	v_fmac_f64_e32 v[50:51], s[6:7], v[58:59]
	v_fmac_f64_e32 v[46:47], s[6:7], v[58:59]
	v_add_f64 v[58:59], v[134:135], v[150:151]
	v_lshlrev_b32_sdwa v9, v8, v120 dst_sel:DWORD dst_unused:UNUSED_PAD src0_sel:DWORD src1_sel:BYTE_0
	v_fmac_f64_e32 v[2:3], -0.5, v[58:59]
	v_add3_u32 v9, 0, v9, v164
	v_fma_f64 v[58:59], s[0:1], v[124:125], v[2:3]
	v_add_f64 v[130:131], v[138:139], -v[134:135]
	v_add_f64 v[132:133], v[142:143], -v[150:151]
	v_fmac_f64_e32 v[2:3], s[8:9], v[124:125]
	ds_write_b128 v9, v[36:39] offset:1600
	ds_write_b128 v9, v[32:35] offset:1760
	;; [unrolled: 1-line block ×5, first 2 shown]
	v_lshlrev_b32_sdwa v4, v8, v168 dst_sel:DWORD dst_unused:UNUSED_PAD src0_sel:DWORD src1_sel:BYTE_0
	v_fmac_f64_e32 v[58:59], s[10:11], v[122:123]
	v_add_f64 v[130:131], v[130:131], v[132:133]
	v_fmac_f64_e32 v[2:3], s[2:3], v[122:123]
	v_add3_u32 v4, 0, v4, v164
	v_lshlrev_b32_e32 v120, 1, v128
	v_fmac_f64_e32 v[58:59], s[6:7], v[130:131]
	v_fmac_f64_e32 v[2:3], s[6:7], v[130:131]
	ds_write_b128 v4, v[52:55] offset:1600
	ds_write_b128 v4, v[48:51] offset:1760
	;; [unrolled: 1-line block ×5, first 2 shown]
	v_lshl_add_u64 v[0:1], v[120:121], 4, s[4:5]
	s_waitcnt lgkmcnt(0)
	; wave barrier
	s_waitcnt lgkmcnt(0)
	global_load_dwordx4 v[28:31], v[0:1], off offset:640
	global_load_dwordx4 v[24:27], v[0:1], off offset:656
	v_lshlrev_b32_e32 v0, 1, v167
	v_mov_b32_e32 v1, v121
	v_lshl_add_u64 v[0:1], v[0:1], 4, s[4:5]
	global_load_dwordx4 v[40:43], v[0:1], off offset:640
	global_load_dwordx4 v[32:35], v[0:1], off offset:656
	v_add_u32_e32 v0, 20, v120
	v_mov_b32_e32 v1, v121
	v_lshl_add_u64 v[0:1], v[0:1], 4, s[4:5]
	global_load_dwordx4 v[48:51], v[0:1], off offset:640
	global_load_dwordx4 v[44:47], v[0:1], off offset:656
	v_add_u32_e32 v0, 30, v120
	v_mov_b32_e32 v1, v121
	v_lshlrev_b32_e32 v4, 1, v166
	v_mov_b32_e32 v5, v121
	v_lshl_add_u64 v[0:1], v[0:1], 4, s[4:5]
	v_lshl_add_u64 v[4:5], v[4:5], 4, s[4:5]
	global_load_dwordx4 v[56:59], v[0:1], off offset:640
	global_load_dwordx4 v[52:55], v[0:1], off offset:656
	ds_read_b128 v[12:15], v163
	ds_read_b128 v[0:3], v129 offset:80
	global_load_dwordx4 v[60:63], v[4:5], off offset:656
	global_load_dwordx4 v[64:67], v[4:5], off offset:640
	v_lshlrev_b32_e32 v4, 1, v165
	v_mov_b32_e32 v5, v121
	v_lshl_add_u64 v[4:5], v[4:5], 4, s[4:5]
	ds_read_b128 v[86:89], v129 offset:800
	ds_read_b128 v[72:75], v129 offset:880
	;; [unrolled: 1-line block ×6, first 2 shown]
	global_load_dwordx4 v[76:79], v[4:5], off offset:656
	global_load_dwordx4 v[80:83], v[4:5], off offset:640
	v_add_u32_e32 v4, 60, v120
	v_mov_b32_e32 v5, v121
	v_lshl_add_u64 v[4:5], v[4:5], 4, s[4:5]
	ds_read_b128 v[90:93], v129 offset:960
	ds_read_b128 v[94:97], v129 offset:1040
	;; [unrolled: 1-line block ×4, first 2 shown]
	global_load_dwordx4 v[106:109], v[4:5], off offset:656
	global_load_dwordx4 v[110:113], v[4:5], off offset:640
	v_add_u32_e32 v84, 0x46, v120
	v_mov_b32_e32 v85, v121
	v_lshl_add_u64 v[84:85], v[84:85], 4, s[4:5]
	ds_read_b128 v[20:23], v129 offset:320
	ds_read_b128 v[4:7], v129 offset:400
	;; [unrolled: 1-line block ×4, first 2 shown]
	global_load_dwordx4 v[130:133], v[84:85], off offset:656
	global_load_dwordx4 v[134:137], v[84:85], off offset:640
	v_or_b32_e32 v118, 0x50, v120
	v_mov_b32_e32 v119, v121
	v_lshl_add_u64 v[118:119], v[118:119], 4, s[4:5]
	v_add_u32_e32 v120, 0x5a, v120
	ds_read_b128 v[138:141], v129 offset:1920
	ds_read_b128 v[142:145], v129 offset:2000
	global_load_dwordx4 v[146:149], v[118:119], off offset:656
	global_load_dwordx4 v[150:153], v[118:119], off offset:640
	s_mov_b32 s0, 0xe8584caa
	s_mov_b32 s1, 0xbfebb67a
	;; [unrolled: 1-line block ×4, first 2 shown]
	s_waitcnt vmcnt(17) lgkmcnt(14)
	v_mul_f64 v[84:85], v[88:89], v[30:31]
	v_mul_f64 v[30:31], v[86:87], v[30:31]
	v_fmac_f64_e32 v[84:85], v[86:87], v[28:29]
	v_fma_f64 v[88:89], v[88:89], v[28:29], -v[30:31]
	v_lshl_add_u64 v[28:29], v[120:121], 4, s[4:5]
	global_load_dwordx4 v[154:157], v[28:29], off offset:656
	global_load_dwordx4 v[158:161], v[28:29], off offset:640
	s_waitcnt vmcnt(18) lgkmcnt(13)
	v_mul_f64 v[86:87], v[38:39], v[26:27]
	v_mul_f64 v[26:27], v[36:37], v[26:27]
	v_fmac_f64_e32 v[86:87], v[36:37], v[24:25]
	v_fma_f64 v[164:165], v[38:39], v[24:25], -v[26:27]
	s_waitcnt vmcnt(17)
	v_mul_f64 v[24:25], v[72:73], v[42:43]
	v_fma_f64 v[168:169], v[74:75], v[40:41], -v[24:25]
	s_waitcnt vmcnt(16) lgkmcnt(12)
	v_mul_f64 v[24:25], v[68:69], v[34:35]
	v_mul_f64 v[166:167], v[74:75], v[42:43]
	;; [unrolled: 1-line block ×3, first 2 shown]
	v_fma_f64 v[172:173], v[70:71], v[32:33], -v[24:25]
	s_waitcnt vmcnt(15) lgkmcnt(9)
	v_mul_f64 v[174:175], v[92:93], v[50:51]
	v_mul_f64 v[24:25], v[90:91], v[50:51]
	ds_read_b128 v[36:39], v129 offset:480
	ds_read_b128 v[28:31], v129 offset:560
	v_fmac_f64_e32 v[166:167], v[72:73], v[40:41]
	v_fmac_f64_e32 v[170:171], v[68:69], v[32:33]
	ds_read_b128 v[40:43], v129 offset:1280
	ds_read_b128 v[68:71], v129 offset:1360
	v_fmac_f64_e32 v[174:175], v[90:91], v[48:49]
	v_fma_f64 v[90:91], v[92:93], v[48:49], -v[24:25]
	s_waitcnt vmcnt(10) lgkmcnt(7)
	v_mul_f64 v[48:49], v[114:115], v[66:67]
	v_mul_f64 v[92:93], v[100:101], v[46:47]
	;; [unrolled: 1-line block ×4, first 2 shown]
	v_fma_f64 v[66:67], v[116:117], v[64:65], -v[48:49]
	s_waitcnt lgkmcnt(5)
	v_mul_f64 v[186:187], v[140:141], v[62:63]
	v_mul_f64 v[48:49], v[138:139], v[62:63]
	v_fmac_f64_e32 v[92:93], v[98:99], v[44:45]
	v_fma_f64 v[98:99], v[100:101], v[44:45], -v[24:25]
	ds_read_b128 v[44:47], v129 offset:2080
	ds_read_b128 v[72:75], v129 offset:2160
	v_fmac_f64_e32 v[186:187], v[138:139], v[60:61]
	v_fma_f64 v[138:139], v[140:141], v[60:61], -v[48:49]
	s_waitcnt vmcnt(8)
	v_mul_f64 v[140:141], v[124:125], v[82:83]
	v_mul_f64 v[48:49], v[122:123], v[82:83]
	;; [unrolled: 1-line block ×3, first 2 shown]
	v_fmac_f64_e32 v[140:141], v[122:123], v[80:81]
	v_fma_f64 v[122:123], v[124:125], v[80:81], -v[48:49]
	s_waitcnt lgkmcnt(6)
	v_mul_f64 v[124:125], v[144:145], v[78:79]
	v_mul_f64 v[48:49], v[142:143], v[78:79]
	;; [unrolled: 1-line block ×3, first 2 shown]
	v_fma_f64 v[178:179], v[96:97], v[56:57], -v[24:25]
	v_mul_f64 v[24:25], v[102:103], v[54:55]
	v_fmac_f64_e32 v[124:125], v[142:143], v[76:77]
	v_fma_f64 v[142:143], v[144:145], v[76:77], -v[48:49]
	s_waitcnt vmcnt(6) lgkmcnt(3)
	v_mul_f64 v[144:145], v[42:43], v[112:113]
	v_fmac_f64_e32 v[176:177], v[94:95], v[56:57]
	v_mul_f64 v[180:181], v[104:105], v[54:55]
	v_fma_f64 v[182:183], v[104:105], v[52:53], -v[24:25]
	ds_read_b128 v[32:35], v129 offset:640
	ds_read_b128 v[24:27], v129 offset:720
	;; [unrolled: 1-line block ×4, first 2 shown]
	v_fmac_f64_e32 v[144:145], v[40:41], v[110:111]
	v_mul_f64 v[40:41], v[40:41], v[112:113]
	v_fmac_f64_e32 v[184:185], v[114:115], v[64:65]
	ds_read_b128 v[62:65], v129 offset:2240
	ds_read_b128 v[76:79], v129 offset:2320
	v_fma_f64 v[188:189], v[42:43], v[110:111], -v[40:41]
	s_waitcnt lgkmcnt(7)
	v_mul_f64 v[40:41], v[44:45], v[108:109]
	v_fma_f64 v[192:193], v[46:47], v[106:107], -v[40:41]
	s_waitcnt vmcnt(4)
	v_mul_f64 v[40:41], v[68:69], v[136:137]
	v_fmac_f64_e32 v[180:181], v[102:103], v[52:53]
	v_fma_f64 v[52:53], v[70:71], v[134:135], -v[40:41]
	s_waitcnt lgkmcnt(6)
	v_mul_f64 v[48:49], v[74:75], v[132:133]
	v_mul_f64 v[40:41], v[72:73], v[132:133]
	v_fmac_f64_e32 v[48:49], v[72:73], v[130:131]
	v_fma_f64 v[130:131], v[74:75], v[130:131], -v[40:41]
	s_waitcnt vmcnt(2) lgkmcnt(3)
	v_mul_f64 v[40:41], v[56:57], v[152:153]
	v_mul_f64 v[190:191], v[46:47], v[108:109]
	;; [unrolled: 1-line block ×3, first 2 shown]
	v_fmac_f64_e32 v[40:41], v[54:55], v[150:151]
	v_mul_f64 v[42:43], v[54:55], v[152:153]
	v_fmac_f64_e32 v[190:191], v[44:45], v[106:107]
	v_fmac_f64_e32 v[46:47], v[68:69], v[134:135]
	v_fma_f64 v[44:45], v[56:57], v[150:151], -v[42:43]
	s_waitcnt lgkmcnt(1)
	v_mul_f64 v[42:43], v[64:65], v[148:149]
	v_mul_f64 v[50:51], v[62:63], v[148:149]
	v_fmac_f64_e32 v[42:43], v[62:63], v[146:147]
	v_fma_f64 v[50:51], v[64:65], v[146:147], -v[50:51]
	s_waitcnt lgkmcnt(0)
	; wave barrier
	s_waitcnt vmcnt(1) lgkmcnt(0)
	v_mul_f64 v[136:137], v[78:79], v[156:157]
	s_waitcnt vmcnt(0)
	v_mul_f64 v[54:55], v[58:59], v[160:161]
	v_fma_f64 v[134:135], v[60:61], v[158:159], -v[54:55]
	v_mul_f64 v[54:55], v[76:77], v[156:157]
	v_fma_f64 v[146:147], v[78:79], v[154:155], -v[54:55]
	v_add_f64 v[54:55], v[12:13], v[84:85]
	v_add_f64 v[116:117], v[54:55], v[86:87]
	v_add_f64 v[54:55], v[84:85], v[86:87]
	v_fmac_f64_e32 v[12:13], -0.5, v[54:55]
	v_add_f64 v[54:55], v[88:89], -v[164:165]
	v_fma_f64 v[112:113], s[0:1], v[54:55], v[12:13]
	v_fmac_f64_e32 v[12:13], s[2:3], v[54:55]
	v_add_f64 v[54:55], v[14:15], v[88:89]
	v_add_f64 v[118:119], v[54:55], v[164:165]
	v_add_f64 v[54:55], v[88:89], v[164:165]
	v_fmac_f64_e32 v[14:15], -0.5, v[54:55]
	v_add_f64 v[54:55], v[84:85], -v[86:87]
	v_fma_f64 v[114:115], s[2:3], v[54:55], v[14:15]
	v_fmac_f64_e32 v[14:15], s[0:1], v[54:55]
	v_add_f64 v[54:55], v[0:1], v[166:167]
	v_add_f64 v[108:109], v[54:55], v[170:171]
	v_add_f64 v[54:55], v[166:167], v[170:171]
	v_fmac_f64_e32 v[0:1], -0.5, v[54:55]
	v_add_f64 v[54:55], v[168:169], -v[172:173]
	v_fma_f64 v[104:105], s[0:1], v[54:55], v[0:1]
	v_fmac_f64_e32 v[0:1], s[2:3], v[54:55]
	v_add_f64 v[54:55], v[2:3], v[168:169]
	v_add_f64 v[110:111], v[54:55], v[172:173]
	v_add_f64 v[54:55], v[168:169], v[172:173]
	v_fmac_f64_e32 v[2:3], -0.5, v[54:55]
	v_add_f64 v[54:55], v[166:167], -v[170:171]
	v_fma_f64 v[106:107], s[2:3], v[54:55], v[2:3]
	v_fmac_f64_e32 v[2:3], s[0:1], v[54:55]
	v_add_f64 v[54:55], v[16:17], v[174:175]
	v_add_f64 v[100:101], v[54:55], v[92:93]
	v_add_f64 v[54:55], v[174:175], v[92:93]
	v_fmac_f64_e32 v[16:17], -0.5, v[54:55]
	v_add_f64 v[54:55], v[90:91], -v[98:99]
	v_fma_f64 v[96:97], s[0:1], v[54:55], v[16:17]
	v_fmac_f64_e32 v[16:17], s[2:3], v[54:55]
	v_add_f64 v[54:55], v[18:19], v[90:91]
	v_add_f64 v[102:103], v[54:55], v[98:99]
	v_add_f64 v[54:55], v[90:91], v[98:99]
	v_fmac_f64_e32 v[18:19], -0.5, v[54:55]
	v_add_f64 v[54:55], v[174:175], -v[92:93]
	v_fma_f64 v[98:99], s[2:3], v[54:55], v[18:19]
	v_fmac_f64_e32 v[18:19], s[0:1], v[54:55]
	v_add_f64 v[54:55], v[8:9], v[176:177]
	v_add_f64 v[92:93], v[54:55], v[180:181]
	v_add_f64 v[54:55], v[176:177], v[180:181]
	v_fmac_f64_e32 v[8:9], -0.5, v[54:55]
	v_add_f64 v[54:55], v[178:179], -v[182:183]
	v_fma_f64 v[88:89], s[0:1], v[54:55], v[8:9]
	v_fmac_f64_e32 v[8:9], s[2:3], v[54:55]
	v_add_f64 v[54:55], v[10:11], v[178:179]
	v_add_f64 v[94:95], v[54:55], v[182:183]
	v_add_f64 v[54:55], v[178:179], v[182:183]
	v_fmac_f64_e32 v[10:11], -0.5, v[54:55]
	v_add_f64 v[54:55], v[176:177], -v[180:181]
	v_fma_f64 v[90:91], s[2:3], v[54:55], v[10:11]
	v_fmac_f64_e32 v[10:11], s[0:1], v[54:55]
	v_add_f64 v[54:55], v[20:21], v[184:185]
	v_add_f64 v[84:85], v[54:55], v[186:187]
	v_add_f64 v[54:55], v[184:185], v[186:187]
	v_fmac_f64_e32 v[20:21], -0.5, v[54:55]
	v_add_f64 v[54:55], v[66:67], -v[138:139]
	v_fma_f64 v[80:81], s[0:1], v[54:55], v[20:21]
	v_fmac_f64_e32 v[20:21], s[2:3], v[54:55]
	v_add_f64 v[54:55], v[22:23], v[66:67]
	v_add_f64 v[86:87], v[54:55], v[138:139]
	v_add_f64 v[54:55], v[66:67], v[138:139]
	v_fmac_f64_e32 v[22:23], -0.5, v[54:55]
	v_add_f64 v[54:55], v[184:185], -v[186:187]
	v_fma_f64 v[82:83], s[2:3], v[54:55], v[22:23]
	v_fmac_f64_e32 v[22:23], s[0:1], v[54:55]
	v_add_f64 v[54:55], v[4:5], v[140:141]
	v_fmac_f64_e32 v[136:137], v[76:77], v[154:155]
	v_add_f64 v[76:77], v[54:55], v[124:125]
	v_add_f64 v[54:55], v[140:141], v[124:125]
	v_fmac_f64_e32 v[4:5], -0.5, v[54:55]
	v_add_f64 v[54:55], v[122:123], -v[142:143]
	v_fma_f64 v[72:73], s[0:1], v[54:55], v[4:5]
	v_fmac_f64_e32 v[4:5], s[2:3], v[54:55]
	v_add_f64 v[54:55], v[6:7], v[122:123]
	v_add_f64 v[78:79], v[54:55], v[142:143]
	v_add_f64 v[54:55], v[122:123], v[142:143]
	v_fmac_f64_e32 v[6:7], -0.5, v[54:55]
	v_add_f64 v[54:55], v[140:141], -v[124:125]
	v_fma_f64 v[74:75], s[2:3], v[54:55], v[6:7]
	v_fmac_f64_e32 v[6:7], s[0:1], v[54:55]
	v_add_f64 v[54:55], v[36:37], v[144:145]
	v_add_f64 v[68:69], v[54:55], v[190:191]
	v_add_f64 v[54:55], v[144:145], v[190:191]
	v_fmac_f64_e32 v[36:37], -0.5, v[54:55]
	v_add_f64 v[54:55], v[188:189], -v[192:193]
	v_fma_f64 v[64:65], s[0:1], v[54:55], v[36:37]
	v_fmac_f64_e32 v[36:37], s[2:3], v[54:55]
	v_add_f64 v[54:55], v[38:39], v[188:189]
	v_add_f64 v[70:71], v[54:55], v[192:193]
	v_add_f64 v[54:55], v[188:189], v[192:193]
	v_fmac_f64_e32 v[38:39], -0.5, v[54:55]
	v_add_f64 v[54:55], v[144:145], -v[190:191]
	v_fma_f64 v[66:67], s[2:3], v[54:55], v[38:39]
	v_fmac_f64_e32 v[38:39], s[0:1], v[54:55]
	v_add_f64 v[54:55], v[28:29], v[46:47]
	v_mul_f64 v[132:133], v[60:61], v[160:161]
	v_add_f64 v[60:61], v[54:55], v[48:49]
	v_add_f64 v[54:55], v[46:47], v[48:49]
	v_fmac_f64_e32 v[28:29], -0.5, v[54:55]
	v_add_f64 v[54:55], v[52:53], -v[130:131]
	v_fma_f64 v[56:57], s[0:1], v[54:55], v[28:29]
	v_fmac_f64_e32 v[28:29], s[2:3], v[54:55]
	v_add_f64 v[54:55], v[30:31], v[52:53]
	v_add_f64 v[52:53], v[52:53], v[130:131]
	v_fmac_f64_e32 v[30:31], -0.5, v[52:53]
	v_add_f64 v[46:47], v[46:47], -v[48:49]
	v_fmac_f64_e32 v[132:133], v[58:59], v[158:159]
	v_fma_f64 v[58:59], s[2:3], v[46:47], v[30:31]
	v_fmac_f64_e32 v[30:31], s[0:1], v[46:47]
	v_add_f64 v[46:47], v[32:33], v[40:41]
	v_add_f64 v[52:53], v[46:47], v[42:43]
	;; [unrolled: 1-line block ×3, first 2 shown]
	v_fmac_f64_e32 v[32:33], -0.5, v[46:47]
	v_add_f64 v[46:47], v[44:45], -v[50:51]
	v_fma_f64 v[48:49], s[0:1], v[46:47], v[32:33]
	v_fmac_f64_e32 v[32:33], s[2:3], v[46:47]
	v_add_f64 v[46:47], v[34:35], v[44:45]
	v_add_f64 v[44:45], v[44:45], v[50:51]
	v_fmac_f64_e32 v[34:35], -0.5, v[44:45]
	v_add_f64 v[40:41], v[40:41], -v[42:43]
	v_add_f64 v[62:63], v[54:55], v[130:131]
	v_add_f64 v[54:55], v[46:47], v[50:51]
	v_fma_f64 v[50:51], s[2:3], v[40:41], v[34:35]
	v_fmac_f64_e32 v[34:35], s[0:1], v[40:41]
	v_add_f64 v[40:41], v[24:25], v[132:133]
	v_add_f64 v[44:45], v[40:41], v[136:137]
	;; [unrolled: 1-line block ×3, first 2 shown]
	v_fmac_f64_e32 v[24:25], -0.5, v[40:41]
	v_add_f64 v[42:43], v[134:135], -v[146:147]
	v_fma_f64 v[40:41], s[0:1], v[42:43], v[24:25]
	v_fmac_f64_e32 v[24:25], s[2:3], v[42:43]
	v_add_f64 v[42:43], v[26:27], v[134:135]
	v_add_f64 v[46:47], v[42:43], v[146:147]
	;; [unrolled: 1-line block ×3, first 2 shown]
	v_fmac_f64_e32 v[26:27], -0.5, v[42:43]
	v_add_f64 v[122:123], v[132:133], -v[136:137]
	v_fma_f64 v[42:43], s[2:3], v[122:123], v[26:27]
	v_fmac_f64_e32 v[26:27], s[0:1], v[122:123]
	ds_write_b128 v129, v[116:119]
	ds_write_b128 v129, v[112:115] offset:800
	ds_write_b128 v129, v[12:15] offset:1600
	;; [unrolled: 1-line block ×29, first 2 shown]
	s_waitcnt lgkmcnt(0)
	; wave barrier
	s_waitcnt lgkmcnt(0)
	s_and_saveexec_b64 s[0:1], vcc
	s_cbranch_execz .LBB0_18
; %bb.17:
	v_lshl_add_u32 v10, v128, 4, v162
	ds_read_b128 v[0:3], v10
	ds_read_b128 v[4:7], v10 offset:80
	v_mov_b32_e32 v129, v121
	v_add_u32_e32 v120, 5, v128
	v_lshl_add_u64 v[8:9], v[128:129], 4, v[126:127]
	s_waitcnt lgkmcnt(1)
	global_store_dwordx4 v[8:9], v[0:3], off
	v_lshl_add_u64 v[8:9], v[120:121], 4, v[126:127]
	ds_read_b128 v[0:3], v10 offset:160
	s_waitcnt lgkmcnt(1)
	global_store_dwordx4 v[8:9], v[4:7], off
	ds_read_b128 v[4:7], v10 offset:240
	v_add_u32_e32 v120, 10, v128
	v_lshl_add_u64 v[8:9], v[120:121], 4, v[126:127]
	v_add_u32_e32 v120, 15, v128
	s_waitcnt lgkmcnt(1)
	global_store_dwordx4 v[8:9], v[0:3], off
	v_lshl_add_u64 v[8:9], v[120:121], 4, v[126:127]
	ds_read_b128 v[0:3], v10 offset:320
	s_waitcnt lgkmcnt(1)
	global_store_dwordx4 v[8:9], v[4:7], off
	ds_read_b128 v[4:7], v10 offset:400
	v_add_u32_e32 v120, 20, v128
	v_lshl_add_u64 v[8:9], v[120:121], 4, v[126:127]
	v_add_u32_e32 v120, 25, v128
	;; [unrolled: 10-line block ×14, first 2 shown]
	s_waitcnt lgkmcnt(1)
	global_store_dwordx4 v[8:9], v[0:3], off
	s_nop 1
	v_lshl_add_u64 v[0:1], v[120:121], 4, v[126:127]
	s_waitcnt lgkmcnt(0)
	global_store_dwordx4 v[0:1], v[4:7], off
.LBB0_18:
	s_endpgm
	.section	.rodata,"a",@progbits
	.p2align	6, 0x0
	.amdhsa_kernel fft_rtc_back_len150_factors_10_5_3_wgs_60_tpt_5_halfLds_dp_ip_CI_unitstride_sbrr_C2R_dirReg
		.amdhsa_group_segment_fixed_size 0
		.amdhsa_private_segment_fixed_size 0
		.amdhsa_kernarg_size 88
		.amdhsa_user_sgpr_count 2
		.amdhsa_user_sgpr_dispatch_ptr 0
		.amdhsa_user_sgpr_queue_ptr 0
		.amdhsa_user_sgpr_kernarg_segment_ptr 1
		.amdhsa_user_sgpr_dispatch_id 0
		.amdhsa_user_sgpr_kernarg_preload_length 0
		.amdhsa_user_sgpr_kernarg_preload_offset 0
		.amdhsa_user_sgpr_private_segment_size 0
		.amdhsa_uses_dynamic_stack 0
		.amdhsa_enable_private_segment 0
		.amdhsa_system_sgpr_workgroup_id_x 1
		.amdhsa_system_sgpr_workgroup_id_y 0
		.amdhsa_system_sgpr_workgroup_id_z 0
		.amdhsa_system_sgpr_workgroup_info 0
		.amdhsa_system_vgpr_workitem_id 0
		.amdhsa_next_free_vgpr 198
		.amdhsa_next_free_sgpr 22
		.amdhsa_accum_offset 200
		.amdhsa_reserve_vcc 1
		.amdhsa_float_round_mode_32 0
		.amdhsa_float_round_mode_16_64 0
		.amdhsa_float_denorm_mode_32 3
		.amdhsa_float_denorm_mode_16_64 3
		.amdhsa_dx10_clamp 1
		.amdhsa_ieee_mode 1
		.amdhsa_fp16_overflow 0
		.amdhsa_tg_split 0
		.amdhsa_exception_fp_ieee_invalid_op 0
		.amdhsa_exception_fp_denorm_src 0
		.amdhsa_exception_fp_ieee_div_zero 0
		.amdhsa_exception_fp_ieee_overflow 0
		.amdhsa_exception_fp_ieee_underflow 0
		.amdhsa_exception_fp_ieee_inexact 0
		.amdhsa_exception_int_div_zero 0
	.end_amdhsa_kernel
	.text
.Lfunc_end0:
	.size	fft_rtc_back_len150_factors_10_5_3_wgs_60_tpt_5_halfLds_dp_ip_CI_unitstride_sbrr_C2R_dirReg, .Lfunc_end0-fft_rtc_back_len150_factors_10_5_3_wgs_60_tpt_5_halfLds_dp_ip_CI_unitstride_sbrr_C2R_dirReg
                                        ; -- End function
	.section	.AMDGPU.csdata,"",@progbits
; Kernel info:
; codeLenInByte = 14804
; NumSgprs: 28
; NumVgprs: 198
; NumAgprs: 0
; TotalNumVgprs: 198
; ScratchSize: 0
; MemoryBound: 0
; FloatMode: 240
; IeeeMode: 1
; LDSByteSize: 0 bytes/workgroup (compile time only)
; SGPRBlocks: 3
; VGPRBlocks: 24
; NumSGPRsForWavesPerEU: 28
; NumVGPRsForWavesPerEU: 198
; AccumOffset: 200
; Occupancy: 2
; WaveLimiterHint : 1
; COMPUTE_PGM_RSRC2:SCRATCH_EN: 0
; COMPUTE_PGM_RSRC2:USER_SGPR: 2
; COMPUTE_PGM_RSRC2:TRAP_HANDLER: 0
; COMPUTE_PGM_RSRC2:TGID_X_EN: 1
; COMPUTE_PGM_RSRC2:TGID_Y_EN: 0
; COMPUTE_PGM_RSRC2:TGID_Z_EN: 0
; COMPUTE_PGM_RSRC2:TIDIG_COMP_CNT: 0
; COMPUTE_PGM_RSRC3_GFX90A:ACCUM_OFFSET: 49
; COMPUTE_PGM_RSRC3_GFX90A:TG_SPLIT: 0
	.text
	.p2alignl 6, 3212836864
	.fill 256, 4, 3212836864
	.type	__hip_cuid_53cb2114326ed45d,@object ; @__hip_cuid_53cb2114326ed45d
	.section	.bss,"aw",@nobits
	.globl	__hip_cuid_53cb2114326ed45d
__hip_cuid_53cb2114326ed45d:
	.byte	0                               ; 0x0
	.size	__hip_cuid_53cb2114326ed45d, 1

	.ident	"AMD clang version 19.0.0git (https://github.com/RadeonOpenCompute/llvm-project roc-6.4.0 25133 c7fe45cf4b819c5991fe208aaa96edf142730f1d)"
	.section	".note.GNU-stack","",@progbits
	.addrsig
	.addrsig_sym __hip_cuid_53cb2114326ed45d
	.amdgpu_metadata
---
amdhsa.kernels:
  - .agpr_count:     0
    .args:
      - .actual_access:  read_only
        .address_space:  global
        .offset:         0
        .size:           8
        .value_kind:     global_buffer
      - .offset:         8
        .size:           8
        .value_kind:     by_value
      - .actual_access:  read_only
        .address_space:  global
        .offset:         16
        .size:           8
        .value_kind:     global_buffer
      - .actual_access:  read_only
        .address_space:  global
        .offset:         24
        .size:           8
        .value_kind:     global_buffer
      - .offset:         32
        .size:           8
        .value_kind:     by_value
      - .actual_access:  read_only
        .address_space:  global
        .offset:         40
        .size:           8
        .value_kind:     global_buffer
      - .actual_access:  read_only
        .address_space:  global
        .offset:         48
        .size:           8
        .value_kind:     global_buffer
      - .offset:         56
        .size:           4
        .value_kind:     by_value
      - .actual_access:  read_only
        .address_space:  global
        .offset:         64
        .size:           8
        .value_kind:     global_buffer
      - .actual_access:  read_only
        .address_space:  global
        .offset:         72
        .size:           8
        .value_kind:     global_buffer
      - .address_space:  global
        .offset:         80
        .size:           8
        .value_kind:     global_buffer
    .group_segment_fixed_size: 0
    .kernarg_segment_align: 8
    .kernarg_segment_size: 88
    .language:       OpenCL C
    .language_version:
      - 2
      - 0
    .max_flat_workgroup_size: 60
    .name:           fft_rtc_back_len150_factors_10_5_3_wgs_60_tpt_5_halfLds_dp_ip_CI_unitstride_sbrr_C2R_dirReg
    .private_segment_fixed_size: 0
    .sgpr_count:     28
    .sgpr_spill_count: 0
    .symbol:         fft_rtc_back_len150_factors_10_5_3_wgs_60_tpt_5_halfLds_dp_ip_CI_unitstride_sbrr_C2R_dirReg.kd
    .uniform_work_group_size: 1
    .uses_dynamic_stack: false
    .vgpr_count:     198
    .vgpr_spill_count: 0
    .wavefront_size: 64
amdhsa.target:   amdgcn-amd-amdhsa--gfx950
amdhsa.version:
  - 1
  - 2
...

	.end_amdgpu_metadata
